;; amdgpu-corpus repo=ROCm/rocFFT kind=compiled arch=gfx1201 opt=O3
	.text
	.amdgcn_target "amdgcn-amd-amdhsa--gfx1201"
	.amdhsa_code_object_version 6
	.protected	bluestein_single_back_len1400_dim1_dp_op_CI_CI ; -- Begin function bluestein_single_back_len1400_dim1_dp_op_CI_CI
	.globl	bluestein_single_back_len1400_dim1_dp_op_CI_CI
	.p2align	8
	.type	bluestein_single_back_len1400_dim1_dp_op_CI_CI,@function
bluestein_single_back_len1400_dim1_dp_op_CI_CI: ; @bluestein_single_back_len1400_dim1_dp_op_CI_CI
; %bb.0:
	s_load_b128 s[12:15], s[0:1], 0x28
	v_mul_u32_u24_e32 v1, 0x493, v0
	s_mov_b32 s2, exec_lo
	v_mov_b32_e32 v6, 0
	s_delay_alu instid0(VALU_DEP_2) | instskip(NEXT) | instid1(VALU_DEP_1)
	v_lshrrev_b32_e32 v1, 16, v1
	v_add_nc_u32_e32 v5, ttmp9, v1
	s_wait_kmcnt 0x0
	s_delay_alu instid0(VALU_DEP_1)
	v_cmpx_gt_u64_e64 s[12:13], v[5:6]
	s_cbranch_execz .LBB0_39
; %bb.1:
	s_clause 0x1
	s_load_b128 s[4:7], s[0:1], 0x18
	s_load_b64 s[12:13], s[0:1], 0x0
	v_mul_lo_u16 v1, v1, 56
	v_mov_b32_e32 v6, v5
	s_movk_i32 s2, 0xfd7c
	s_mov_b32 s3, -1
	s_delay_alu instid0(VALU_DEP_2)
	v_sub_nc_u16 v2, v0, v1
	scratch_store_b64 off, v[6:7], off offset:44 ; 8-byte Folded Spill
	s_wait_kmcnt 0x0
	s_load_b128 s[8:11], s[4:5], 0x0
	s_wait_kmcnt 0x0
	v_mad_co_u64_u32 v[0:1], null, s10, v5, 0
	s_mul_u64 s[4:5], s[8:9], 0x2bc
	s_mul_u64 s[2:3], s[8:9], s[2:3]
	s_delay_alu instid0(SALU_CYCLE_1) | instskip(NEXT) | instid1(VALU_DEP_1)
	s_lshl_b64 s[2:3], s[2:3], 4
	v_mad_co_u64_u32 v[5:6], null, s11, v5, v[1:2]
	v_and_b32_e32 v236, 0xffff, v2
	s_lshl_b64 s[10:11], s[4:5], 4
	s_delay_alu instid0(VALU_DEP_2) | instskip(NEXT) | instid1(VALU_DEP_2)
	v_mov_b32_e32 v1, v5
	v_mad_co_u64_u32 v[3:4], null, s8, v236, 0
	v_or_b32_e32 v9, 0x1c0, v236
	v_lshlrev_b32_e32 v168, 4, v236
	s_delay_alu instid0(VALU_DEP_4)
	v_lshlrev_b64_e32 v[0:1], 4, v[0:1]
	s_clause 0x3
	global_load_b128 v[245:248], v168, s[12:13]
	global_load_b128 v[229:232], v168, s[12:13] offset:896
	global_load_b128 v[241:244], v168, s[12:13] offset:11200
	;; [unrolled: 1-line block ×3, first 2 shown]
	v_mad_co_u64_u32 v[6:7], null, s9, v236, v[4:5]
	v_add_co_u32 v5, vcc_lo, s14, v0
	s_clause 0x2
	global_load_b128 v[217:220], v168, s[12:13] offset:12992
	global_load_b128 v[237:240], v168, s[12:13] offset:1792
	global_load_b128 v[221:224], v168, s[12:13] offset:2688
	scratch_store_b32 off, v9, off offset:56 ; 4-byte Folded Spill
	global_load_b128 v[147:150], v168, s[12:13] offset:7168
	v_mov_b32_e32 v4, v6
	v_add_co_ci_u32_e32 v6, vcc_lo, s15, v1, vcc_lo
	v_mad_co_u64_u32 v[0:1], null, s8, v9, 0
	s_delay_alu instid0(VALU_DEP_3) | instskip(NEXT) | instid1(VALU_DEP_1)
	v_lshlrev_b64_e32 v[3:4], 4, v[3:4]
	v_add_co_u32 v7, vcc_lo, v5, v3
	s_wait_alu 0xfffd
	s_delay_alu instid0(VALU_DEP_2) | instskip(NEXT) | instid1(VALU_DEP_4)
	v_add_co_ci_u32_e32 v8, vcc_lo, v6, v4, vcc_lo
	v_mad_co_u64_u32 v[3:4], null, s9, v9, v[1:2]
	s_wait_alu 0xfffe
	v_add_co_u32 v11, vcc_lo, v7, s10
	s_wait_alu 0xfffd
	v_add_co_ci_u32_e32 v12, vcc_lo, s11, v8, vcc_lo
	s_delay_alu instid0(VALU_DEP_2) | instskip(SKIP_1) | instid1(VALU_DEP_2)
	v_add_co_u32 v15, vcc_lo, v11, s2
	s_wait_alu 0xfffd
	v_add_co_ci_u32_e32 v16, vcc_lo, s3, v12, vcc_lo
	v_mov_b32_e32 v1, v3
	s_delay_alu instid0(VALU_DEP_3) | instskip(SKIP_1) | instid1(VALU_DEP_3)
	v_add_co_u32 v19, vcc_lo, v15, s10
	s_wait_alu 0xfffd
	v_add_co_ci_u32_e32 v20, vcc_lo, s11, v16, vcc_lo
	s_delay_alu instid0(VALU_DEP_3) | instskip(NEXT) | instid1(VALU_DEP_3)
	v_lshlrev_b64_e32 v[0:1], 4, v[0:1]
	v_add_co_u32 v23, vcc_lo, v19, s2
	s_wait_alu 0xfffd
	s_delay_alu instid0(VALU_DEP_3) | instskip(NEXT) | instid1(VALU_DEP_2)
	v_add_co_ci_u32_e32 v24, vcc_lo, s3, v20, vcc_lo
	v_add_co_u32 v27, vcc_lo, v23, s10
	s_wait_alu 0xfffd
	s_delay_alu instid0(VALU_DEP_2) | instskip(NEXT) | instid1(VALU_DEP_2)
	v_add_co_ci_u32_e32 v28, vcc_lo, s11, v24, vcc_lo
	v_add_co_u32 v31, vcc_lo, v27, s2
	s_wait_alu 0xfffd
	s_delay_alu instid0(VALU_DEP_2) | instskip(NEXT) | instid1(VALU_DEP_2)
	;; [unrolled: 4-line block ×3, first 2 shown]
	v_add_co_ci_u32_e32 v36, vcc_lo, s11, v32, vcc_lo
	v_add_co_u32 v39, vcc_lo, v35, s2
	s_wait_alu 0xfffd
	s_delay_alu instid0(VALU_DEP_2)
	v_add_co_ci_u32_e32 v40, vcc_lo, s3, v36, vcc_lo
	v_add_co_u32 v0, vcc_lo, v5, v0
	s_wait_alu 0xfffd
	v_add_co_ci_u32_e32 v1, vcc_lo, v6, v1, vcc_lo
	v_add_co_u32 v43, vcc_lo, v39, s10
	s_wait_alu 0xfffd
	v_add_co_ci_u32_e32 v44, vcc_lo, s11, v40, vcc_lo
	global_load_b128 v[3:6], v[0:1], off
	v_add_co_u32 v0, vcc_lo, v43, s2
	s_wait_alu 0xfffd
	v_add_co_ci_u32_e32 v1, vcc_lo, s3, v44, vcc_lo
	s_clause 0x1
	global_load_b128 v[7:10], v[7:8], off
	global_load_b128 v[11:14], v[11:12], off
	v_add_co_u32 v51, vcc_lo, v0, s10
	s_wait_alu 0xfffd
	v_add_co_ci_u32_e32 v52, vcc_lo, s11, v1, vcc_lo
	s_clause 0x1
	global_load_b128 v[15:18], v[15:16], off
	global_load_b128 v[19:22], v[19:20], off
	v_add_co_u32 v55, vcc_lo, v51, s2
	s_wait_alu 0xfffd
	v_add_co_ci_u32_e32 v56, vcc_lo, s3, v52, vcc_lo
	global_load_b128 v[23:26], v[23:24], off
	v_add_co_u32 v59, vcc_lo, v55, s10
	s_wait_alu 0xfffd
	v_add_co_ci_u32_e32 v60, vcc_lo, s11, v56, vcc_lo
	;; [unrolled: 4-line block ×4, first 2 shown]
	global_load_b128 v[209:212], v168, s[12:13] offset:13888
	global_load_b128 v[35:38], v[35:36], off
	global_load_b128 v[39:42], v[39:40], off
	s_clause 0x1
	global_load_b128 v[213:216], v168, s[12:13] offset:3584
	global_load_b128 v[205:208], v168, s[12:13] offset:14784
	global_load_b128 v[43:46], v[43:44], off
	global_load_b128 v[201:204], v168, s[12:13] offset:4480
	global_load_b128 v[47:50], v[0:1], off
	s_clause 0x5
	global_load_b128 v[197:200], v168, s[12:13] offset:15680
	global_load_b128 v[193:196], v168, s[12:13] offset:5376
	;; [unrolled: 1-line block ×6, first 2 shown]
	v_mad_co_u64_u32 v[71:72], null, 0x380, s8, v[67:68]
	s_clause 0x3
	global_load_b128 v[155:158], v168, s[12:13] offset:18368
	global_load_b128 v[159:162], v168, s[12:13] offset:19264
	;; [unrolled: 1-line block ×4, first 2 shown]
	global_load_b128 v[51:54], v[51:52], off
	global_load_b128 v[55:58], v[55:56], off
	;; [unrolled: 1-line block ×5, first 2 shown]
	v_mov_b32_e32 v0, v72
	s_delay_alu instid0(VALU_DEP_1) | instskip(NEXT) | instid1(VALU_DEP_1)
	v_mad_co_u64_u32 v[0:1], null, 0x380, s9, v[0:1]
	v_mov_b32_e32 v72, v0
	v_add_co_u32 v0, vcc_lo, v71, s2
	s_wait_alu 0xfffd
	s_delay_alu instid0(VALU_DEP_2) | instskip(NEXT) | instid1(VALU_DEP_2)
	v_add_co_ci_u32_e32 v1, vcc_lo, s3, v72, vcc_lo
	v_add_co_u32 v79, vcc_lo, v0, s10
	global_load_b128 v[71:74], v[71:72], off
	s_wait_alu 0xfffd
	v_add_co_ci_u32_e32 v80, vcc_lo, s11, v1, vcc_lo
	v_add_co_u32 v83, vcc_lo, v79, s2
	global_load_b128 v[75:78], v[0:1], off
	s_wait_alu 0xfffd
	;; [unrolled: 4-line block ×4, first 2 shown]
	v_add_co_ci_u32_e32 v92, vcc_lo, s3, v88, vcc_lo
	v_add_co_u32 v0, vcc_lo, v91, s10
	s_wait_alu 0xfffd
	s_delay_alu instid0(VALU_DEP_2)
	v_add_co_ci_u32_e32 v1, vcc_lo, s11, v92, vcc_lo
	global_load_b128 v[87:90], v[87:88], off
	global_load_b128 v[181:184], v168, s[12:13] offset:9856
	global_load_b128 v[91:94], v[91:92], off
	global_load_b128 v[185:188], v168, s[12:13] offset:21056
	global_load_b128 v[95:98], v[0:1], off
	v_cmp_gt_u16_e32 vcc_lo, 28, v2
	s_wait_loadcnt 0x2f
	scratch_store_b128 off, v[245:248], off offset:428 ; 16-byte Folded Spill
	s_wait_loadcnt 0x2e
	scratch_store_b128 off, v[229:232], off offset:380 ; 16-byte Folded Spill
	s_wait_loadcnt 0x2d
	scratch_store_b128 off, v[241:244], off offset:412 ; 16-byte Folded Spill
	s_wait_loadcnt 0x2c
	scratch_store_b128 off, v[225:228], off offset:364 ; 16-byte Folded Spill
	s_wait_loadcnt 0x2a
	scratch_store_b128 off, v[237:240], off offset:396 ; 16-byte Folded Spill
	s_wait_loadcnt 0x29
	s_clause 0x1
	scratch_store_b128 off, v[221:224], off offset:348
	scratch_store_b128 off, v[217:220], off offset:332
	s_wait_loadcnt 0x28
	scratch_store_b128 off, v[147:150], off offset:60 ; 16-byte Folded Spill
	s_wait_loadcnt 0x27
	v_mul_f64_e32 v[103:104], v[5:6], v[149:150]
	v_mul_f64_e32 v[105:106], v[3:4], v[149:150]
	s_wait_loadcnt 0x26
	v_mul_f64_e32 v[99:100], v[9:10], v[247:248]
	v_mul_f64_e32 v[101:102], v[7:8], v[247:248]
	;; [unrolled: 3-line block ×7, first 2 shown]
	s_wait_loadcnt 0x1c
	scratch_store_b128 off, v[213:216], off offset:316 ; 16-byte Folded Spill
	v_mul_f64_e32 v[127:128], v[33:34], v[223:224]
	s_wait_loadcnt 0x1a
	v_mul_f64_e32 v[139:140], v[45:46], v[207:208]
	v_mul_f64_e32 v[141:142], v[43:44], v[207:208]
	s_wait_loadcnt 0x18
	v_mul_f64_e32 v[143:144], v[49:50], v[203:204]
	v_mul_f64_e32 v[131:132], v[37:38], v[211:212]
	v_mul_f64_e32 v[133:134], v[35:36], v[211:212]
	v_mul_f64_e32 v[135:136], v[41:42], v[215:216]
	s_wait_loadcnt 0x12
	scratch_store_b128 off, v[151:154], off offset:76 ; 16-byte Folded Spill
	v_mul_f64_e32 v[137:138], v[39:40], v[215:216]
	v_mul_f64_e32 v[145:146], v[47:48], v[203:204]
	;; [unrolled: 1-line block ×3, first 2 shown]
	s_clause 0x1
	scratch_store_b128 off, v[209:212], off offset:300
	scratch_store_b128 off, v[205:208], off offset:284
	v_fma_f64 v[3:4], v[3:4], v[147:148], v[103:104]
	v_fma_f64 v[5:6], v[5:6], v[147:148], -v[105:106]
	s_wait_loadcnt 0xc
	v_mul_f64_e32 v[103:104], v[57:58], v[195:196]
	v_mul_f64_e32 v[105:106], v[55:56], v[195:196]
	v_fma_f64 v[7:8], v[7:8], v[245:246], v[99:100]
	v_fma_f64 v[9:10], v[9:10], v[245:246], -v[101:102]
	v_mul_f64_e32 v[99:100], v[53:54], v[199:200]
	v_mul_f64_e32 v[101:102], v[51:52], v[199:200]
	v_fma_f64 v[11:12], v[11:12], v[241:242], v[107:108]
	v_fma_f64 v[15:16], v[15:16], v[229:230], v[111:112]
	v_fma_f64 v[17:18], v[17:18], v[229:230], -v[113:114]
	s_wait_loadcnt 0xa
	v_mul_f64_e32 v[111:112], v[65:66], v[179:180]
	v_mul_f64_e32 v[113:114], v[63:64], v[179:180]
	v_fma_f64 v[13:14], v[13:14], v[241:242], -v[109:110]
	v_mul_f64_e32 v[107:108], v[61:62], v[191:192]
	v_mul_f64_e32 v[109:110], v[59:60], v[191:192]
	v_fma_f64 v[19:20], v[19:20], v[225:226], v[115:116]
	v_fma_f64 v[21:22], v[21:22], v[225:226], -v[117:118]
	s_wait_loadcnt 0x9
	v_mul_f64_e32 v[115:116], v[69:70], v[165:166]
	v_mul_f64_e32 v[117:118], v[67:68], v[165:166]
	v_fma_f64 v[27:28], v[27:28], v[217:218], v[123:124]
	v_fma_f64 v[29:30], v[29:30], v[217:218], -v[125:126]
	v_fma_f64 v[23:24], v[23:24], v[237:238], v[119:120]
	v_fma_f64 v[25:26], v[25:26], v[237:238], -v[121:122]
	s_clause 0x1
	scratch_store_b128 off, v[201:204], off offset:268
	scratch_store_b128 off, v[197:200], off offset:252
	v_fma_f64 v[43:44], v[43:44], v[205:206], v[139:140]
	v_fma_f64 v[45:46], v[45:46], v[205:206], -v[141:142]
	v_fma_f64 v[47:48], v[47:48], v[201:202], v[143:144]
	v_fma_f64 v[35:36], v[35:36], v[209:210], v[131:132]
	v_fma_f64 v[37:38], v[37:38], v[209:210], -v[133:134]
	v_fma_f64 v[39:40], v[39:40], v[213:214], v[135:136]
	s_wait_loadcnt 0x7
	v_mul_f64_e32 v[123:124], v[77:78], v[153:154]
	v_fma_f64 v[41:42], v[41:42], v[213:214], -v[137:138]
	v_fma_f64 v[49:50], v[49:50], v[201:202], -v[145:146]
	v_mul_f64_e32 v[125:126], v[75:76], v[153:154]
	v_mul_f64_e32 v[119:120], v[73:74], v[157:158]
	;; [unrolled: 1-line block ×3, first 2 shown]
	v_fma_f64 v[31:32], v[31:32], v[221:222], v[127:128]
	v_fma_f64 v[33:34], v[33:34], v[221:222], -v[129:130]
	s_wait_loadcnt 0x5
	v_mul_f64_e32 v[131:132], v[85:86], v[171:172]
	v_mul_f64_e32 v[133:134], v[83:84], v[171:172]
	;; [unrolled: 1-line block ×4, first 2 shown]
	s_wait_loadcnt 0x4
	v_mul_f64_e32 v[135:136], v[89:90], v[175:176]
	v_mul_f64_e32 v[137:138], v[87:88], v[175:176]
	s_wait_loadcnt 0x2
	v_mul_f64_e32 v[139:140], v[93:94], v[183:184]
	v_mul_f64_e32 v[141:142], v[91:92], v[183:184]
	;; [unrolled: 3-line block ×3, first 2 shown]
	v_fma_f64 v[51:52], v[51:52], v[197:198], v[99:100]
	v_fma_f64 v[53:54], v[53:54], v[197:198], -v[101:102]
	v_fma_f64 v[55:56], v[55:56], v[193:194], v[103:104]
	v_fma_f64 v[57:58], v[57:58], v[193:194], -v[105:106]
	;; [unrolled: 2-line block ×5, first 2 shown]
	s_clause 0x9
	scratch_store_b128 off, v[193:196], off offset:236
	scratch_store_b128 off, v[189:192], off offset:220
	;; [unrolled: 1-line block ×10, first 2 shown]
	v_fma_f64 v[75:76], v[75:76], v[151:152], v[123:124]
	s_load_b64 s[8:9], s[0:1], 0x38
	s_load_b128 s[4:7], s[6:7], 0x0
	v_add_co_u32 v99, s14, s12, v168
	v_fma_f64 v[77:78], v[77:78], v[151:152], -v[125:126]
	v_fma_f64 v[71:72], v[71:72], v[155:156], v[119:120]
	v_fma_f64 v[73:74], v[73:74], v[155:156], -v[121:122]
	s_wait_alu 0xf1ff
	v_add_co_ci_u32_e64 v100, null, s13, 0, s14
	v_fma_f64 v[83:84], v[83:84], v[169:170], v[131:132]
	v_fma_f64 v[85:86], v[85:86], v[169:170], -v[133:134]
	v_fma_f64 v[79:80], v[79:80], v[159:160], v[127:128]
	v_fma_f64 v[87:88], v[87:88], v[173:174], v[135:136]
	v_fma_f64 v[89:90], v[89:90], v[173:174], -v[137:138]
	v_fma_f64 v[91:92], v[91:92], v[181:182], v[139:140]
	v_fma_f64 v[93:94], v[93:94], v[181:182], -v[141:142]
	;; [unrolled: 2-line block ×3, first 2 shown]
	v_fma_f64 v[81:82], v[81:82], v[159:160], -v[129:130]
	scratch_store_b64 off, v[99:100], off   ; 8-byte Folded Spill
	ds_store_b128 v168, v[7:10]
	ds_store_b128 v168, v[15:18] offset:896
	ds_store_b128 v168, v[11:14] offset:11200
	;; [unrolled: 1-line block ×23, first 2 shown]
	s_and_saveexec_b32 s14, vcc_lo
	s_cbranch_execz .LBB0_3
; %bb.2:
	v_add_co_u32 v0, s2, v0, s2
	s_wait_alu 0xf1ff
	v_add_co_ci_u32_e64 v1, s2, s3, v1, s2
	s_delay_alu instid0(VALU_DEP_2) | instskip(SKIP_1) | instid1(VALU_DEP_2)
	v_add_co_u32 v12, s2, v0, s10
	s_wait_alu 0xf1ff
	v_add_co_ci_u32_e64 v13, s2, s11, v1, s2
	global_load_b128 v[0:3], v[0:1], off
	scratch_load_b64 v[8:9], off, off       ; 8-byte Folded Reload
	s_wait_loadcnt 0x0
	s_clause 0x1
	global_load_b128 v[4:7], v[8:9], off offset:10752
	global_load_b128 v[8:11], v[8:9], off offset:21952
	global_load_b128 v[12:15], v[12:13], off
	s_wait_loadcnt 0x2
	v_mul_f64_e32 v[16:17], v[2:3], v[6:7]
	v_mul_f64_e32 v[6:7], v[0:1], v[6:7]
	s_wait_loadcnt 0x0
	v_mul_f64_e32 v[18:19], v[14:15], v[10:11]
	v_mul_f64_e32 v[10:11], v[12:13], v[10:11]
	s_delay_alu instid0(VALU_DEP_4) | instskip(NEXT) | instid1(VALU_DEP_4)
	v_fma_f64 v[0:1], v[0:1], v[4:5], v[16:17]
	v_fma_f64 v[2:3], v[2:3], v[4:5], -v[6:7]
	s_delay_alu instid0(VALU_DEP_4) | instskip(NEXT) | instid1(VALU_DEP_4)
	v_fma_f64 v[4:5], v[12:13], v[8:9], v[18:19]
	v_fma_f64 v[6:7], v[14:15], v[8:9], -v[10:11]
	ds_store_b128 v168, v[0:3] offset:10752
	ds_store_b128 v168, v[4:7] offset:21952
.LBB0_3:
	s_wait_alu 0xfffe
	s_or_b32 exec_lo, exec_lo, s14
	global_wb scope:SCOPE_SE
	s_wait_storecnt_dscnt 0x0
	s_wait_kmcnt 0x0
	s_barrier_signal -1
	s_barrier_wait -1
	global_inv scope:SCOPE_SE
	ds_load_b128 v[48:51], v168
	ds_load_b128 v[40:43], v168 offset:896
	ds_load_b128 v[100:103], v168 offset:11200
	;; [unrolled: 1-line block ×23, first 2 shown]
                                        ; implicit-def: $vgpr28_vgpr29
                                        ; implicit-def: $vgpr56_vgpr57
	s_and_saveexec_b32 s2, vcc_lo
	s_cbranch_execz .LBB0_5
; %bb.4:
	ds_load_b128 v[28:31], v168 offset:10752
	ds_load_b128 v[56:59], v168 offset:21952
.LBB0_5:
	s_wait_alu 0xfffe
	s_or_b32 exec_lo, exec_lo, s2
	s_wait_dscnt 0x15
	v_add_f64_e64 v[100:101], v[48:49], -v[100:101]
	v_add_f64_e64 v[102:103], v[50:51], -v[102:103]
	s_wait_dscnt 0x14
	v_add_f64_e64 v[96:97], v[40:41], -v[96:97]
	v_add_f64_e64 v[98:99], v[42:43], -v[98:99]
	;; [unrolled: 3-line block ×12, first 2 shown]
	v_add_f64_e64 v[52:53], v[28:29], -v[56:57]
	v_add_f64_e64 v[54:55], v[30:31], -v[58:59]
	s_load_b64 s[2:3], s[0:1], 0x8
	v_add_co_u32 v233, s0, v236, 56
	s_wait_alu 0xf1ff
	v_add_co_ci_u32_e64 v104, null, 0, 0, s0
	v_add_co_u32 v232, s0, 0x70, v236
	s_wait_alu 0xf1ff
	v_add_co_ci_u32_e64 v104, null, 0, 0, s0
	v_add_co_u32 v241, null, 0xa8, v236
	v_lshlrev_b32_e32 v104, 1, v236
	v_fma_f64 v[48:49], v[48:49], 2.0, -v[100:101]
	v_fma_f64 v[50:51], v[50:51], 2.0, -v[102:103]
	;; [unrolled: 1-line block ×26, first 2 shown]
	v_add_co_u32 v240, null, 0xe0, v236
	v_lshlrev_b32_e32 v106, 5, v236
	v_lshlrev_b32_e32 v107, 5, v233
	;; [unrolled: 1-line block ×4, first 2 shown]
	v_add_nc_u32_e32 v108, 0x230, v104
	global_wb scope:SCOPE_SE
	s_wait_kmcnt 0x0
	s_barrier_signal -1
	s_barrier_wait -1
	global_inv scope:SCOPE_SE
	v_lshlrev_b32_e32 v30, 5, v240
	ds_store_b128 v106, v[100:103] offset:16
	ds_store_b128 v106, v[48:51]
	ds_store_b128 v107, v[96:99] offset:16
	ds_store_b128 v107, v[40:43]
	;; [unrolled: 2-line block ×3, first 2 shown]
	s_clause 0x1
	scratch_store_b32 off, v29, off offset:468
	scratch_store_b32 off, v30, off offset:492
	ds_store_b128 v29, v[36:39]
	ds_store_b128 v29, v[88:91] offset:16
	v_lshlrev_b32_e32 v29, 4, v108
	v_add_nc_u32_e32 v110, 0x2a0, v104
	v_add_nc_u32_e32 v111, 0x310, v104
	scratch_store_b32 off, v106, off offset:448 ; 4-byte Folded Spill
	ds_store_b128 v30, v[32:35]
	ds_store_b128 v30, v[84:87] offset:16
	v_lshlrev_b32_e32 v30, 4, v110
	scratch_store_b32 off, v29, off offset:472 ; 4-byte Folded Spill
	ds_store_b128 v29, v[80:83] offset:16
	v_lshlrev_b32_e32 v29, 4, v111
	s_clause 0x2
	scratch_store_b32 off, v107, off offset:452
	scratch_store_b32 off, v28, off offset:464
	scratch_store_b32 off, v30, off offset:460
	v_lshlrev_b32_e32 v28, 4, v104
	scratch_store_b32 off, v29, off offset:456 ; 4-byte Folded Spill
	v_add_nc_u32_e32 v112, 0x3f0, v104
	v_add_co_u32 v116, null, 0x2a0, v236
	ds_store_b128 v28, v[56:59] offset:8960
	ds_store_b128 v28, v[4:7] offset:10752
	v_or_b32_e32 v4, 0x1c0, v236
	v_add_nc_u32_e32 v114, 0x460, v104
	v_add_nc_u32_e32 v115, 0x4d0, v104
	v_lshlrev_b32_e32 v105, 1, v233
	v_lshlrev_b32_e32 v106, 1, v232
	;; [unrolled: 1-line block ×7, first 2 shown]
	ds_store_b128 v30, v[76:79] offset:16
	ds_store_b128 v28, v[8:11] offset:12544
	;; [unrolled: 1-line block ×3, first 2 shown]
	ds_store_b128 v5, v[12:15]
	ds_store_b128 v5, v[68:71] offset:16
	scratch_store_b32 off, v5, off offset:476 ; 4-byte Folded Spill
	v_lshlrev_b32_e32 v6, 4, v114
	scratch_store_b32 off, v4, off offset:484 ; 4-byte Folded Spill
	ds_store_b128 v28, v[16:19] offset:16128
	ds_store_b128 v4, v[64:67] offset:16
	v_lshlrev_b32_e32 v5, 4, v115
	v_lshlrev_b32_e32 v4, 5, v116
	ds_store_b128 v28, v[20:23] offset:17920
	s_clause 0x1
	scratch_store_b32 off, v6, off offset:488
	scratch_store_b32 off, v4, off offset:932
	ds_store_b128 v6, v[60:63] offset:16
	ds_store_b128 v28, v[24:27] offset:19712
	scratch_store_b32 off, v5, off offset:480 ; 4-byte Folded Spill
	ds_store_b128 v5, v[117:120] offset:16
	s_and_saveexec_b32 s0, vcc_lo
	s_cbranch_execz .LBB0_7
; %bb.6:
	v_lshlrev_b32_e32 v4, 5, v116
	ds_store_b128 v4, v[0:3]
	ds_store_b128 v4, v[52:55] offset:16
.LBB0_7:
	s_wait_alu 0xfffe
	s_or_b32 exec_lo, exec_lo, s0
	global_wb scope:SCOPE_SE
	s_wait_storecnt_dscnt 0x0
	s_barrier_signal -1
	s_barrier_wait -1
	global_inv scope:SCOPE_SE
	ds_load_b128 v[48:51], v168
	ds_load_b128 v[44:47], v168 offset:896
	ds_load_b128 v[100:103], v168 offset:11200
	;; [unrolled: 1-line block ×23, first 2 shown]
	s_and_saveexec_b32 s0, vcc_lo
	s_cbranch_execz .LBB0_9
; %bb.8:
	ds_load_b128 v[0:3], v168 offset:10752
	ds_load_b128 v[52:55], v168 offset:21952
.LBB0_9:
	s_wait_alu 0xfffe
	s_or_b32 exec_lo, exec_lo, s0
	v_and_b32_e32 v135, 1, v236
	s_delay_alu instid0(VALU_DEP_1)
	v_lshlrev_b32_e32 v117, 4, v135
	global_load_b128 v[136:139], v117, s[2:3]
	global_wb scope:SCOPE_SE
	s_wait_loadcnt_dscnt 0x0
	s_barrier_signal -1
	s_barrier_wait -1
	global_inv scope:SCOPE_SE
	scratch_store_b32 off, v135, off offset:828 ; 4-byte Folded Spill
	v_mul_f64_e32 v[117:118], v[102:103], v[138:139]
	s_delay_alu instid0(VALU_DEP_1) | instskip(SKIP_1) | instid1(VALU_DEP_1)
	v_fma_f64 v[117:118], v[100:101], v[136:137], -v[117:118]
	v_mul_f64_e32 v[100:101], v[100:101], v[138:139]
	v_fma_f64 v[100:101], v[102:103], v[136:137], v[100:101]
	v_mul_f64_e32 v[102:103], v[94:95], v[138:139]
	s_delay_alu instid0(VALU_DEP_1) | instskip(SKIP_1) | instid1(VALU_DEP_1)
	v_fma_f64 v[102:103], v[92:93], v[136:137], -v[102:103]
	v_mul_f64_e32 v[92:93], v[92:93], v[138:139]
	v_fma_f64 v[92:93], v[94:95], v[136:137], v[92:93]
	;; [unrolled: 5-line block ×6, first 2 shown]
	v_mul_f64_e32 v[76:77], v[82:83], v[138:139]
	s_delay_alu instid0(VALU_DEP_2) | instskip(NEXT) | instid1(VALU_DEP_2)
	v_add_f64_e64 v[78:79], v[30:31], -v[78:79]
	v_fma_f64 v[119:120], v[80:81], v[136:137], -v[76:77]
	v_mul_f64_e32 v[76:77], v[80:81], v[138:139]
	s_delay_alu instid0(VALU_DEP_3) | instskip(NEXT) | instid1(VALU_DEP_3)
	v_fma_f64 v[30:31], v[30:31], 2.0, -v[78:79]
	v_add_f64_e64 v[80:81], v[24:25], -v[119:120]
	s_delay_alu instid0(VALU_DEP_3) | instskip(SKIP_1) | instid1(VALU_DEP_3)
	v_fma_f64 v[82:83], v[82:83], v[136:137], v[76:77]
	v_mul_f64_e32 v[76:77], v[70:71], v[138:139]
	v_fma_f64 v[24:25], v[24:25], 2.0, -v[80:81]
	s_delay_alu instid0(VALU_DEP_3) | instskip(NEXT) | instid1(VALU_DEP_3)
	v_add_f64_e64 v[82:83], v[26:27], -v[82:83]
	v_fma_f64 v[121:122], v[68:69], v[136:137], -v[76:77]
	v_mul_f64_e32 v[68:69], v[68:69], v[138:139]
	v_add_f64_e64 v[76:77], v[28:29], -v[90:91]
	s_delay_alu instid0(VALU_DEP_4) | instskip(NEXT) | instid1(VALU_DEP_3)
	v_fma_f64 v[26:27], v[26:27], 2.0, -v[82:83]
	v_fma_f64 v[123:124], v[70:71], v[136:137], v[68:69]
	v_mul_f64_e32 v[68:69], v[74:75], v[138:139]
	v_add_f64_e64 v[70:71], v[38:39], -v[84:85]
	v_add_f64_e64 v[84:85], v[20:21], -v[121:122]
	v_fma_f64 v[28:29], v[28:29], 2.0, -v[76:77]
	s_delay_alu instid0(VALU_DEP_4)
	v_fma_f64 v[125:126], v[72:73], v[136:137], -v[68:69]
	v_mul_f64_e32 v[68:69], v[72:73], v[138:139]
	v_add_f64_e64 v[72:73], v[32:33], -v[86:87]
	v_fma_f64 v[38:39], v[38:39], 2.0, -v[70:71]
	v_add_f64_e64 v[86:87], v[22:23], -v[123:124]
	v_fma_f64 v[20:21], v[20:21], 2.0, -v[84:85]
	v_fma_f64 v[127:128], v[74:75], v[136:137], v[68:69]
	v_mul_f64_e32 v[68:69], v[62:63], v[138:139]
	v_add_f64_e64 v[74:75], v[34:35], -v[88:89]
	v_fma_f64 v[32:33], v[32:33], 2.0, -v[72:73]
	v_add_f64_e64 v[88:89], v[16:17], -v[125:126]
	v_fma_f64 v[22:23], v[22:23], 2.0, -v[86:87]
	v_add_f64_e64 v[90:91], v[18:19], -v[127:128]
	v_fma_f64 v[129:130], v[60:61], v[136:137], -v[68:69]
	v_mul_f64_e32 v[60:61], v[60:61], v[138:139]
	v_add_f64_e64 v[68:69], v[36:37], -v[98:99]
	v_fma_f64 v[34:35], v[34:35], 2.0, -v[74:75]
	v_fma_f64 v[16:17], v[16:17], 2.0, -v[88:89]
	;; [unrolled: 1-line block ×3, first 2 shown]
	v_fma_f64 v[131:132], v[62:63], v[136:137], v[60:61]
	v_mul_f64_e32 v[60:61], v[66:67], v[138:139]
	v_add_f64_e64 v[62:63], v[46:47], -v[92:93]
	v_fma_f64 v[36:37], v[36:37], 2.0, -v[68:69]
	v_add_f64_e64 v[92:93], v[12:13], -v[129:130]
	s_delay_alu instid0(VALU_DEP_4)
	v_fma_f64 v[133:134], v[64:65], v[136:137], -v[60:61]
	v_mul_f64_e32 v[60:61], v[64:65], v[138:139]
	v_add_f64_e64 v[64:65], v[40:41], -v[94:95]
	v_fma_f64 v[46:47], v[46:47], 2.0, -v[62:63]
	v_add_f64_e64 v[94:95], v[14:15], -v[131:132]
	v_fma_f64 v[12:13], v[12:13], 2.0, -v[92:93]
	v_fma_f64 v[140:141], v[66:67], v[136:137], v[60:61]
	v_mul_f64_e32 v[60:61], v[58:59], v[138:139]
	v_add_f64_e64 v[66:67], v[42:43], -v[96:97]
	v_fma_f64 v[40:41], v[40:41], 2.0, -v[64:65]
	v_add_f64_e64 v[96:97], v[8:9], -v[133:134]
	v_fma_f64 v[14:15], v[14:15], 2.0, -v[94:95]
	v_add_f64_e64 v[98:99], v[10:11], -v[140:141]
	v_fma_f64 v[142:143], v[56:57], v[136:137], -v[60:61]
	v_mul_f64_e32 v[56:57], v[56:57], v[138:139]
	v_add_f64_e64 v[60:61], v[44:45], -v[102:103]
	v_fma_f64 v[42:43], v[42:43], 2.0, -v[66:67]
	v_fma_f64 v[8:9], v[8:9], 2.0, -v[96:97]
	;; [unrolled: 1-line block ×3, first 2 shown]
	v_fma_f64 v[144:145], v[58:59], v[136:137], v[56:57]
	v_mul_f64_e32 v[56:57], v[54:55], v[138:139]
	v_add_f64_e64 v[58:59], v[50:51], -v[100:101]
	v_add_f64_e64 v[100:101], v[4:5], -v[142:143]
	v_fma_f64 v[44:45], v[44:45], 2.0, -v[60:61]
	v_add_f64_e64 v[102:103], v[6:7], -v[144:145]
	v_fma_f64 v[146:147], v[52:53], v[136:137], -v[56:57]
	v_mul_f64_e32 v[52:53], v[52:53], v[138:139]
	v_add_f64_e64 v[56:57], v[48:49], -v[117:118]
	v_fma_f64 v[50:51], v[50:51], 2.0, -v[58:59]
	v_fma_f64 v[117:118], v[4:5], 2.0, -v[100:101]
	;; [unrolled: 1-line block ×3, first 2 shown]
	v_fma_f64 v[54:55], v[54:55], v[136:137], v[52:53]
	v_add_f64_e64 v[52:53], v[0:1], -v[146:147]
	v_fma_f64 v[48:49], v[48:49], 2.0, -v[56:57]
	s_delay_alu instid0(VALU_DEP_3) | instskip(NEXT) | instid1(VALU_DEP_3)
	v_add_f64_e64 v[54:55], v[2:3], -v[54:55]
	v_fma_f64 v[4:5], v[0:1], 2.0, -v[52:53]
	v_and_or_b32 v0, 0x7c, v104, v135
	v_and_or_b32 v1, 0x5fc, v115, v135
	s_delay_alu instid0(VALU_DEP_2) | instskip(NEXT) | instid1(VALU_DEP_2)
	v_lshlrev_b32_e32 v0, 4, v0
	v_lshlrev_b32_e32 v1, 4, v1
	ds_store_b128 v0, v[56:59] offset:32
	ds_store_b128 v0, v[48:51]
	scratch_store_b32 off, v0, off offset:540 ; 4-byte Folded Spill
	v_and_or_b32 v0, 0xfc, v105, v135
	s_delay_alu instid0(VALU_DEP_1) | instskip(SKIP_4) | instid1(VALU_DEP_1)
	v_lshlrev_b32_e32 v0, 4, v0
	ds_store_b128 v0, v[44:47]
	ds_store_b128 v0, v[60:63] offset:32
	scratch_store_b32 off, v0, off offset:548 ; 4-byte Folded Spill
	v_and_or_b32 v0, 0x1fc, v106, v135
	v_lshlrev_b32_e32 v0, 4, v0
	ds_store_b128 v0, v[40:43]
	ds_store_b128 v0, v[64:67] offset:32
	scratch_store_b32 off, v0, off offset:536 ; 4-byte Folded Spill
	v_and_or_b32 v0, 0x1fc, v107, v135
	v_fma_f64 v[6:7], v[2:3], 2.0, -v[54:55]
	s_delay_alu instid0(VALU_DEP_2) | instskip(SKIP_4) | instid1(VALU_DEP_1)
	v_lshlrev_b32_e32 v0, 4, v0
	ds_store_b128 v0, v[36:39]
	ds_store_b128 v0, v[68:71] offset:32
	scratch_store_b32 off, v0, off offset:528 ; 4-byte Folded Spill
	v_and_or_b32 v0, 0x3fc, v109, v135
	v_lshlrev_b32_e32 v0, 4, v0
	ds_store_b128 v0, v[32:35]
	ds_store_b128 v0, v[72:75] offset:32
	scratch_store_b32 off, v0, off offset:524 ; 4-byte Folded Spill
	v_and_or_b32 v0, 0x2fc, v108, v135
	s_delay_alu instid0(VALU_DEP_1) | instskip(SKIP_4) | instid1(VALU_DEP_1)
	v_lshlrev_b32_e32 v0, 4, v0
	ds_store_b128 v0, v[28:31]
	ds_store_b128 v0, v[76:79] offset:32
	scratch_store_b32 off, v0, off offset:520 ; 4-byte Folded Spill
	v_and_or_b32 v0, 0x3fc, v110, v135
	v_lshlrev_b32_e32 v0, 4, v0
	ds_store_b128 v0, v[24:27]
	ds_store_b128 v0, v[80:83] offset:32
	scratch_store_b32 off, v0, off offset:516 ; 4-byte Folded Spill
	v_and_or_b32 v0, 0x3fc, v111, v135
	s_delay_alu instid0(VALU_DEP_1) | instskip(SKIP_4) | instid1(VALU_DEP_1)
	v_lshlrev_b32_e32 v0, 4, v0
	ds_store_b128 v0, v[20:23]
	ds_store_b128 v0, v[84:87] offset:32
	scratch_store_b32 off, v0, off offset:512 ; 4-byte Folded Spill
	v_and_or_b32 v0, 0x3fc, v113, v135
	v_lshlrev_b32_e32 v0, 4, v0
	ds_store_b128 v0, v[16:19]
	ds_store_b128 v0, v[88:91] offset:32
	scratch_store_b32 off, v0, off offset:508 ; 4-byte Folded Spill
	v_and_or_b32 v0, 0x7fc, v112, v135
	s_delay_alu instid0(VALU_DEP_1)
	v_lshlrev_b32_e32 v3, 4, v0
	v_and_or_b32 v0, 0x4fc, v114, v135
	ds_store_b128 v3, v[12:15]
	v_lshlrev_b32_e32 v2, 4, v0
	v_lshlrev_b32_e32 v0, 1, v116
	s_clause 0x1
	scratch_store_b32 off, v0, off offset:8
	scratch_store_b32 off, v3, off offset:504
	ds_store_b128 v3, v[92:95] offset:32
	ds_store_b128 v2, v[8:11]
	scratch_store_b32 off, v2, off offset:500 ; 4-byte Folded Spill
	ds_store_b128 v2, v[96:99] offset:32
	ds_store_b128 v1, v[117:120]
	scratch_store_b32 off, v1, off offset:496 ; 4-byte Folded Spill
	ds_store_b128 v1, v[100:103] offset:32
	s_and_saveexec_b32 s0, vcc_lo
	s_cbranch_execz .LBB0_11
; %bb.10:
	scratch_load_b32 v0, off, off offset:8  ; 4-byte Folded Reload
	v_and_b32_e32 v1, 1, v236
	s_wait_loadcnt 0x0
	s_delay_alu instid0(VALU_DEP_1) | instskip(NEXT) | instid1(VALU_DEP_1)
	v_and_or_b32 v0, 0x57c, v0, v1
	v_lshlrev_b32_e32 v0, 4, v0
	ds_store_b128 v0, v[4:7]
	ds_store_b128 v0, v[52:55] offset:32
.LBB0_11:
	s_wait_alu 0xfffe
	s_or_b32 exec_lo, exec_lo, s0
	global_wb scope:SCOPE_SE
	s_wait_storecnt_dscnt 0x0
	s_barrier_signal -1
	s_barrier_wait -1
	global_inv scope:SCOPE_SE
	ds_load_b128 v[48:51], v168
	ds_load_b128 v[44:47], v168 offset:896
	ds_load_b128 v[100:103], v168 offset:11200
	;; [unrolled: 1-line block ×23, first 2 shown]
	s_and_saveexec_b32 s0, vcc_lo
	s_cbranch_execz .LBB0_13
; %bb.12:
	ds_load_b128 v[4:7], v168 offset:10752
	ds_load_b128 v[52:55], v168 offset:21952
.LBB0_13:
	s_wait_alu 0xfffe
	s_or_b32 exec_lo, exec_lo, s0
	v_and_b32_e32 v148, 3, v236
	s_delay_alu instid0(VALU_DEP_1)
	v_lshlrev_b32_e32 v116, 4, v148
	global_load_b128 v[132:135], v116, s[2:3] offset:32
	global_wb scope:SCOPE_SE
	s_wait_loadcnt_dscnt 0x0
	s_barrier_signal -1
	s_barrier_wait -1
	global_inv scope:SCOPE_SE
	scratch_store_b32 off, v148, off offset:832 ; 4-byte Folded Spill
	v_mul_f64_e32 v[116:117], v[102:103], v[134:135]
	s_delay_alu instid0(VALU_DEP_1) | instskip(SKIP_1) | instid1(VALU_DEP_1)
	v_fma_f64 v[116:117], v[100:101], v[132:133], -v[116:117]
	v_mul_f64_e32 v[100:101], v[100:101], v[134:135]
	v_fma_f64 v[100:101], v[102:103], v[132:133], v[100:101]
	v_mul_f64_e32 v[102:103], v[94:95], v[134:135]
	s_delay_alu instid0(VALU_DEP_1) | instskip(SKIP_1) | instid1(VALU_DEP_1)
	v_fma_f64 v[102:103], v[92:93], v[132:133], -v[102:103]
	v_mul_f64_e32 v[92:93], v[92:93], v[134:135]
	v_fma_f64 v[92:93], v[94:95], v[132:133], v[92:93]
	;; [unrolled: 5-line block ×8, first 2 shown]
	v_mul_f64_e32 v[68:69], v[74:75], v[134:135]
	v_add_f64_e64 v[70:71], v[34:35], -v[88:89]
	s_delay_alu instid0(VALU_DEP_2) | instskip(SKIP_2) | instid1(VALU_DEP_4)
	v_fma_f64 v[120:121], v[72:73], v[132:133], -v[68:69]
	v_mul_f64_e32 v[68:69], v[72:73], v[134:135]
	v_add_f64_e64 v[72:73], v[28:29], -v[90:91]
	v_fma_f64 v[34:35], v[34:35], 2.0, -v[70:71]
	s_delay_alu instid0(VALU_DEP_3)
	v_fma_f64 v[122:123], v[74:75], v[132:133], v[68:69]
	v_mul_f64_e32 v[68:69], v[62:63], v[134:135]
	v_add_f64_e64 v[74:75], v[30:31], -v[76:77]
	v_add_f64_e64 v[76:77], v[24:25], -v[78:79]
	;; [unrolled: 1-line block ×5, first 2 shown]
	v_fma_f64 v[28:29], v[28:29], 2.0, -v[72:73]
	v_fma_f64 v[124:125], v[60:61], v[132:133], -v[68:69]
	v_mul_f64_e32 v[60:61], v[60:61], v[134:135]
	v_add_f64_e64 v[68:69], v[32:33], -v[86:87]
	v_fma_f64 v[30:31], v[30:31], 2.0, -v[74:75]
	v_fma_f64 v[24:25], v[24:25], 2.0, -v[76:77]
	;; [unrolled: 1-line block ×5, first 2 shown]
	v_add_f64_e64 v[86:87], v[18:19], -v[122:123]
	v_add_f64_e64 v[88:89], v[12:13], -v[124:125]
	v_fma_f64 v[126:127], v[62:63], v[132:133], v[60:61]
	v_mul_f64_e32 v[60:61], v[66:67], v[134:135]
	v_add_f64_e64 v[62:63], v[42:43], -v[96:97]
	v_fma_f64 v[32:33], v[32:33], 2.0, -v[68:69]
	v_fma_f64 v[18:19], v[18:19], 2.0, -v[86:87]
	;; [unrolled: 1-line block ×3, first 2 shown]
	v_add_f64_e64 v[90:91], v[14:15], -v[126:127]
	v_fma_f64 v[128:129], v[64:65], v[132:133], -v[60:61]
	v_mul_f64_e32 v[60:61], v[64:65], v[134:135]
	v_add_f64_e64 v[64:65], v[36:37], -v[98:99]
	v_fma_f64 v[42:43], v[42:43], 2.0, -v[62:63]
	v_fma_f64 v[14:15], v[14:15], 2.0, -v[90:91]
	s_delay_alu instid0(VALU_DEP_4) | instskip(SKIP_4) | instid1(VALU_DEP_4)
	v_fma_f64 v[130:131], v[66:67], v[132:133], v[60:61]
	v_mul_f64_e32 v[60:61], v[58:59], v[134:135]
	v_add_f64_e64 v[66:67], v[38:39], -v[84:85]
	v_fma_f64 v[36:37], v[36:37], 2.0, -v[64:65]
	v_add_f64_e64 v[84:85], v[16:17], -v[120:121]
	v_fma_f64 v[140:141], v[56:57], v[132:133], -v[60:61]
	v_mul_f64_e32 v[56:57], v[56:57], v[134:135]
	v_add_f64_e64 v[60:61], v[40:41], -v[94:95]
	v_fma_f64 v[38:39], v[38:39], 2.0, -v[66:67]
	v_add_f64_e64 v[94:95], v[10:11], -v[130:131]
	v_fma_f64 v[16:17], v[16:17], 2.0, -v[84:85]
	v_add_f64_e64 v[96:97], v[0:1], -v[140:141]
	v_fma_f64 v[142:143], v[58:59], v[132:133], v[56:57]
	v_mul_f64_e32 v[56:57], v[54:55], v[134:135]
	v_add_f64_e64 v[58:59], v[46:47], -v[92:93]
	v_fma_f64 v[40:41], v[40:41], 2.0, -v[60:61]
	v_add_f64_e64 v[92:93], v[8:9], -v[128:129]
	v_fma_f64 v[10:11], v[10:11], 2.0, -v[94:95]
	v_add_f64_e64 v[98:99], v[2:3], -v[142:143]
	v_fma_f64 v[144:145], v[52:53], v[132:133], -v[56:57]
	v_mul_f64_e32 v[52:53], v[52:53], v[134:135]
	v_add_f64_e64 v[56:57], v[44:45], -v[102:103]
	v_fma_f64 v[46:47], v[46:47], 2.0, -v[58:59]
	v_fma_f64 v[8:9], v[8:9], 2.0, -v[92:93]
	;; [unrolled: 1-line block ×3, first 2 shown]
	v_fma_f64 v[146:147], v[54:55], v[132:133], v[52:53]
	v_add_f64_e64 v[52:53], v[48:49], -v[116:117]
	v_add_f64_e64 v[54:55], v[50:51], -v[100:101]
	v_fma_f64 v[44:45], v[44:45], 2.0, -v[56:57]
	v_fma_f64 v[100:101], v[0:1], 2.0, -v[96:97]
	v_and_or_b32 v0, 0x78, v104, v148
	s_delay_alu instid0(VALU_DEP_1)
	v_lshlrev_b32_e32 v0, 4, v0
	scratch_store_b32 off, v0, off offset:584 ; 4-byte Folded Spill
	v_add_f64_e64 v[2:3], v[6:7], -v[146:147]
	v_fma_f64 v[48:49], v[48:49], 2.0, -v[52:53]
	v_fma_f64 v[50:51], v[50:51], 2.0, -v[54:55]
	ds_store_b128 v0, v[52:55] offset:64
	ds_store_b128 v0, v[48:51]
	v_and_or_b32 v0, 0xf8, v105, v148
	s_delay_alu instid0(VALU_DEP_1) | instskip(SKIP_4) | instid1(VALU_DEP_1)
	v_lshlrev_b32_e32 v0, 4, v0
	ds_store_b128 v0, v[44:47]
	ds_store_b128 v0, v[56:59] offset:64
	scratch_store_b32 off, v0, off offset:588 ; 4-byte Folded Spill
	v_and_or_b32 v0, 0x1f8, v106, v148
	v_lshlrev_b32_e32 v0, 4, v0
	ds_store_b128 v0, v[40:43]
	ds_store_b128 v0, v[60:63] offset:64
	scratch_store_b32 off, v0, off offset:580 ; 4-byte Folded Spill
	v_and_or_b32 v0, 0x1f8, v107, v148
	s_delay_alu instid0(VALU_DEP_1) | instskip(SKIP_4) | instid1(VALU_DEP_1)
	v_lshlrev_b32_e32 v0, 4, v0
	ds_store_b128 v0, v[36:39]
	ds_store_b128 v0, v[64:67] offset:64
	scratch_store_b32 off, v0, off offset:576 ; 4-byte Folded Spill
	v_and_or_b32 v0, 0x3f8, v109, v148
	v_lshlrev_b32_e32 v0, 4, v0
	ds_store_b128 v0, v[32:35]
	ds_store_b128 v0, v[68:71] offset:64
	scratch_store_b32 off, v0, off offset:572 ; 4-byte Folded Spill
	v_and_or_b32 v0, 0x2f8, v108, v148
	s_delay_alu instid0(VALU_DEP_1) | instskip(SKIP_4) | instid1(VALU_DEP_1)
	v_lshlrev_b32_e32 v0, 4, v0
	ds_store_b128 v0, v[28:31]
	ds_store_b128 v0, v[72:75] offset:64
	scratch_store_b32 off, v0, off offset:568 ; 4-byte Folded Spill
	v_and_or_b32 v0, 0x3f8, v110, v148
	v_lshlrev_b32_e32 v0, 4, v0
	ds_store_b128 v0, v[24:27]
	ds_store_b128 v0, v[76:79] offset:64
	scratch_store_b32 off, v0, off offset:564 ; 4-byte Folded Spill
	v_and_or_b32 v0, 0x3f8, v111, v148
	s_delay_alu instid0(VALU_DEP_1)
	v_lshlrev_b32_e32 v0, 4, v0
	ds_store_b128 v0, v[20:23]
	ds_store_b128 v0, v[80:83] offset:64
	v_and_or_b32 v20, 0x3f8, v113, v148
	v_and_or_b32 v21, 0x7f8, v112, v148
	;; [unrolled: 1-line block ×4, first 2 shown]
	s_delay_alu instid0(VALU_DEP_4)
	v_lshlrev_b32_e32 v25, 4, v20
	scratch_store_b32 off, v0, off offset:560 ; 4-byte Folded Spill
	v_add_f64_e64 v[0:1], v[4:5], -v[144:145]
	v_lshlrev_b32_e32 v24, 4, v21
	v_lshlrev_b32_e32 v21, 4, v22
	;; [unrolled: 1-line block ×3, first 2 shown]
	ds_store_b128 v25, v[16:19]
	scratch_store_b32 off, v25, off offset:556 ; 4-byte Folded Spill
	ds_store_b128 v25, v[84:87] offset:64
	ds_store_b128 v24, v[12:15]
	scratch_store_b32 off, v24, off offset:552 ; 4-byte Folded Spill
	ds_store_b128 v24, v[88:91] offset:64
	;; [unrolled: 3-line block ×4, first 2 shown]
	s_and_saveexec_b32 s0, vcc_lo
	s_cbranch_execz .LBB0_15
; %bb.14:
	scratch_load_b32 v8, off, off offset:8  ; 4-byte Folded Reload
	v_fma_f64 v[6:7], v[6:7], 2.0, -v[2:3]
	v_fma_f64 v[4:5], v[4:5], 2.0, -v[0:1]
	v_and_b32_e32 v9, 3, v236
	s_wait_loadcnt 0x0
	s_delay_alu instid0(VALU_DEP_1) | instskip(NEXT) | instid1(VALU_DEP_1)
	v_and_or_b32 v8, 0x578, v8, v9
	v_lshlrev_b32_e32 v8, 4, v8
	ds_store_b128 v8, v[4:7]
	ds_store_b128 v8, v[0:3] offset:64
.LBB0_15:
	s_wait_alu 0xfffe
	s_or_b32 exec_lo, exec_lo, s0
	v_and_b32_e32 v32, 7, v236
	global_wb scope:SCOPE_SE
	s_wait_storecnt_dscnt 0x0
	s_barrier_signal -1
	s_barrier_wait -1
	global_inv scope:SCOPE_SE
	v_lshlrev_b32_e32 v4, 6, v32
	s_mov_b32 s14, 0x134454ff
	s_mov_b32 s15, 0x3fee6f0e
	;; [unrolled: 1-line block ×3, first 2 shown]
	s_wait_alu 0xfffe
	s_mov_b32 s16, s14
	s_clause 0x3
	global_load_b128 v[140:143], v4, s[2:3] offset:96
	global_load_b128 v[128:131], v4, s[2:3] offset:112
	;; [unrolled: 1-line block ×4, first 2 shown]
	ds_load_b128 v[12:15], v168 offset:4480
	ds_load_b128 v[4:7], v168 offset:8960
	;; [unrolled: 1-line block ×5, first 2 shown]
	s_mov_b32 s0, 0x4755a5e
	s_mov_b32 s1, 0x3fe2cf23
	;; [unrolled: 1-line block ×3, first 2 shown]
	s_wait_alu 0xfffe
	s_mov_b32 s10, s0
	s_mov_b32 s18, 0x372fe950
	;; [unrolled: 1-line block ×3, first 2 shown]
	s_wait_loadcnt_dscnt 0x304
	v_mul_f64_e32 v[24:25], v[14:15], v[142:143]
	v_mul_f64_e32 v[26:27], v[12:13], v[142:143]
	s_wait_loadcnt_dscnt 0x203
	v_mul_f64_e32 v[28:29], v[6:7], v[130:131]
	v_mul_f64_e32 v[30:31], v[4:5], v[130:131]
	s_wait_loadcnt_dscnt 0x102
	v_mul_f64_e32 v[33:34], v[10:11], v[126:127]
	v_mul_f64_e32 v[35:36], v[8:9], v[126:127]
	v_fma_f64 v[24:25], v[12:13], v[140:141], -v[24:25]
	v_fma_f64 v[26:27], v[14:15], v[140:141], v[26:27]
	ds_load_b128 v[12:15], v168 offset:9856
	v_fma_f64 v[28:29], v[4:5], v[128:129], -v[28:29]
	v_fma_f64 v[30:31], v[6:7], v[128:129], v[30:31]
	ds_load_b128 v[4:7], v168 offset:14336
	v_fma_f64 v[45:46], v[8:9], v[124:125], -v[33:34]
	v_fma_f64 v[47:48], v[10:11], v[124:125], v[35:36]
	s_wait_dscnt 0x1
	v_mul_f64_e32 v[8:9], v[14:15], v[130:131]
	v_mul_f64_e32 v[10:11], v[12:13], v[130:131]
	s_delay_alu instid0(VALU_DEP_4) | instskip(NEXT) | instid1(VALU_DEP_4)
	v_add_f64_e32 v[33:34], v[28:29], v[45:46]
	v_add_f64_e64 v[55:56], v[30:31], -v[47:48]
	v_add_f64_e64 v[59:60], v[28:29], -v[45:46]
	v_fma_f64 v[65:66], v[12:13], v[128:129], -v[8:9]
	v_fma_f64 v[67:68], v[14:15], v[128:129], v[10:11]
	ds_load_b128 v[8:11], v168 offset:18816
	s_wait_loadcnt 0x0
	v_mul_f64_e32 v[39:40], v[18:19], v[114:115]
	v_mul_f64_e32 v[37:38], v[16:17], v[114:115]
	s_wait_dscnt 0x0
	v_mul_f64_e32 v[12:13], v[10:11], v[114:115]
	s_delay_alu instid0(VALU_DEP_3) | instskip(SKIP_1) | instid1(VALU_DEP_4)
	v_fma_f64 v[51:52], v[16:17], v[112:113], -v[39:40]
	v_mul_f64_e32 v[16:17], v[6:7], v[126:127]
	v_fma_f64 v[49:50], v[18:19], v[112:113], v[37:38]
	v_mul_f64_e32 v[18:19], v[4:5], v[126:127]
	v_fma_f64 v[73:74], v[8:9], v[112:113], -v[12:13]
	ds_load_b128 v[12:15], v168 offset:12544
	v_add_f64_e64 v[57:58], v[24:25], -v[51:52]
	v_fma_f64 v[69:70], v[4:5], v[124:125], -v[16:17]
	v_mul_f64_e32 v[4:5], v[8:9], v[114:115]
	v_fma_f64 v[71:72], v[6:7], v[124:125], v[18:19]
	v_add_f64_e64 v[53:54], v[26:27], -v[49:50]
	ds_load_b128 v[16:19], v168 offset:17024
	v_add_f64_e64 v[99:100], v[65:66], -v[69:70]
	v_fma_f64 v[75:76], v[10:11], v[112:113], v[4:5]
	ds_load_b128 v[4:7], v168 offset:6272
	v_mul_f64_e32 v[41:42], v[22:23], v[142:143]
	v_mul_f64_e32 v[43:44], v[20:21], v[142:143]
	s_wait_dscnt 0x0
	v_mul_f64_e32 v[8:9], v[6:7], v[142:143]
	s_delay_alu instid0(VALU_DEP_3) | instskip(NEXT) | instid1(VALU_DEP_3)
	v_fma_f64 v[61:62], v[20:21], v[140:141], -v[41:42]
	v_fma_f64 v[63:64], v[22:23], v[140:141], v[43:44]
	v_add_f64_e64 v[22:23], v[51:52], -v[45:46]
	s_delay_alu instid0(VALU_DEP_4) | instskip(SKIP_2) | instid1(VALU_DEP_2)
	v_fma_f64 v[81:82], v[4:5], v[140:141], -v[8:9]
	v_mul_f64_e32 v[4:5], v[4:5], v[142:143]
	v_add_f64_e64 v[97:98], v[61:62], -v[73:74]
	v_fma_f64 v[83:84], v[6:7], v[140:141], v[4:5]
	ds_load_b128 v[4:7], v168 offset:10752
	s_wait_dscnt 0x0
	v_mul_f64_e32 v[8:9], v[6:7], v[130:131]
	s_delay_alu instid0(VALU_DEP_1) | instskip(SKIP_1) | instid1(VALU_DEP_1)
	v_fma_f64 v[85:86], v[4:5], v[128:129], -v[8:9]
	v_mul_f64_e32 v[4:5], v[4:5], v[130:131]
	v_fma_f64 v[87:88], v[6:7], v[128:129], v[4:5]
	ds_load_b128 v[4:7], v168 offset:15232
	s_wait_dscnt 0x0
	v_mul_f64_e32 v[8:9], v[6:7], v[126:127]
	s_delay_alu instid0(VALU_DEP_1) | instskip(SKIP_1) | instid1(VALU_DEP_2)
	v_fma_f64 v[89:90], v[4:5], v[124:125], -v[8:9]
	v_mul_f64_e32 v[4:5], v[4:5], v[126:127]
	v_add_f64_e64 v[144:145], v[85:86], -v[89:90]
	s_delay_alu instid0(VALU_DEP_2) | instskip(SKIP_3) | instid1(VALU_DEP_1)
	v_fma_f64 v[91:92], v[6:7], v[124:125], v[4:5]
	ds_load_b128 v[4:7], v168 offset:19712
	s_wait_dscnt 0x0
	v_mul_f64_e32 v[8:9], v[6:7], v[114:115]
	v_fma_f64 v[93:94], v[4:5], v[112:113], -v[8:9]
	v_mul_f64_e32 v[4:5], v[4:5], v[114:115]
	s_delay_alu instid0(VALU_DEP_2) | instskip(NEXT) | instid1(VALU_DEP_2)
	v_add_f64_e64 v[122:123], v[81:82], -v[93:94]
	v_fma_f64 v[95:96], v[6:7], v[112:113], v[4:5]
	ds_load_b128 v[4:7], v168 offset:7168
	s_wait_dscnt 0x0
	v_mul_f64_e32 v[8:9], v[6:7], v[142:143]
	s_delay_alu instid0(VALU_DEP_1) | instskip(SKIP_1) | instid1(VALU_DEP_1)
	v_fma_f64 v[101:102], v[4:5], v[140:141], -v[8:9]
	v_mul_f64_e32 v[4:5], v[4:5], v[142:143]
	v_fma_f64 v[103:104], v[6:7], v[140:141], v[4:5]
	ds_load_b128 v[4:7], v168 offset:11648
	s_wait_dscnt 0x0
	v_mul_f64_e32 v[8:9], v[6:7], v[130:131]
	s_delay_alu instid0(VALU_DEP_1) | instskip(SKIP_1) | instid1(VALU_DEP_1)
	v_fma_f64 v[105:106], v[4:5], v[128:129], -v[8:9]
	v_mul_f64_e32 v[4:5], v[4:5], v[130:131]
	v_fma_f64 v[107:108], v[6:7], v[128:129], v[4:5]
	ds_load_b128 v[4:7], v168 offset:16128
	s_wait_dscnt 0x0
	v_mul_f64_e32 v[8:9], v[6:7], v[126:127]
	s_delay_alu instid0(VALU_DEP_1) | instskip(SKIP_1) | instid1(VALU_DEP_2)
	v_fma_f64 v[109:110], v[4:5], v[124:125], -v[8:9]
	v_mul_f64_e32 v[4:5], v[4:5], v[126:127]
	v_add_f64_e64 v[148:149], v[105:106], -v[109:110]
	s_delay_alu instid0(VALU_DEP_2) | instskip(SKIP_3) | instid1(VALU_DEP_1)
	v_fma_f64 v[116:117], v[6:7], v[124:125], v[4:5]
	ds_load_b128 v[4:7], v168 offset:20608
	s_wait_dscnt 0x0
	v_mul_f64_e32 v[8:9], v[6:7], v[114:115]
	v_fma_f64 v[118:119], v[4:5], v[112:113], -v[8:9]
	v_mul_f64_e32 v[4:5], v[4:5], v[114:115]
	ds_load_b128 v[8:11], v168 offset:8064
	v_add_f64_e64 v[146:147], v[101:102], -v[118:119]
	v_fma_f64 v[120:121], v[6:7], v[112:113], v[4:5]
	s_wait_dscnt 0x0
	v_mul_f64_e32 v[4:5], v[10:11], v[142:143]
	s_delay_alu instid0(VALU_DEP_1) | instskip(SKIP_2) | instid1(VALU_DEP_2)
	v_fma_f64 v[6:7], v[8:9], v[140:141], -v[4:5]
	v_mul_f64_e32 v[4:5], v[8:9], v[142:143]
	v_mul_f64_e32 v[8:9], v[14:15], v[130:131]
	v_fma_f64 v[4:5], v[10:11], v[140:141], v[4:5]
	s_delay_alu instid0(VALU_DEP_2) | instskip(SKIP_1) | instid1(VALU_DEP_1)
	v_fma_f64 v[10:11], v[12:13], v[128:129], -v[8:9]
	v_mul_f64_e32 v[8:9], v[12:13], v[130:131]
	v_fma_f64 v[12:13], v[14:15], v[128:129], v[8:9]
	v_mul_f64_e32 v[8:9], v[18:19], v[126:127]
	s_delay_alu instid0(VALU_DEP_1) | instskip(SKIP_1) | instid1(VALU_DEP_1)
	v_fma_f64 v[14:15], v[16:17], v[124:125], -v[8:9]
	v_mul_f64_e32 v[8:9], v[16:17], v[126:127]
	v_fma_f64 v[8:9], v[18:19], v[124:125], v[8:9]
	ds_load_b128 v[18:21], v168 offset:21504
	s_wait_dscnt 0x0
	v_mul_f64_e32 v[16:17], v[20:21], v[114:115]
	s_delay_alu instid0(VALU_DEP_1) | instskip(SKIP_1) | instid1(VALU_DEP_1)
	v_fma_f64 v[16:17], v[18:19], v[112:113], -v[16:17]
	v_mul_f64_e32 v[18:19], v[18:19], v[114:115]
	v_fma_f64 v[18:19], v[20:21], v[112:113], v[18:19]
	v_add_f64_e64 v[20:21], v[24:25], -v[28:29]
	s_delay_alu instid0(VALU_DEP_1) | instskip(SKIP_2) | instid1(VALU_DEP_1)
	v_add_f64_e32 v[37:38], v[20:21], v[22:23]
	v_add_f64_e64 v[20:21], v[26:27], -v[30:31]
	v_add_f64_e64 v[22:23], v[49:50], -v[47:48]
	v_add_f64_e32 v[39:40], v[20:21], v[22:23]
	ds_load_b128 v[20:23], v168
	s_wait_dscnt 0x0
	v_fma_f64 v[41:42], v[33:34], -0.5, v[20:21]
	v_add_f64_e32 v[33:34], v[30:31], v[47:48]
	s_delay_alu instid0(VALU_DEP_1) | instskip(NEXT) | instid1(VALU_DEP_3)
	v_fma_f64 v[43:44], v[33:34], -0.5, v[22:23]
	v_fma_f64 v[33:34], v[53:54], s[14:15], v[41:42]
	v_fma_f64 v[41:42], v[53:54], s[16:17], v[41:42]
	s_delay_alu instid0(VALU_DEP_3) | instskip(NEXT) | instid1(VALU_DEP_3)
	v_fma_f64 v[35:36], v[57:58], s[16:17], v[43:44]
	v_fma_f64 v[33:34], v[55:56], s[0:1], v[33:34]
	s_wait_alu 0xfffe
	s_delay_alu instid0(VALU_DEP_3) | instskip(SKIP_1) | instid1(VALU_DEP_4)
	v_fma_f64 v[41:42], v[55:56], s[10:11], v[41:42]
	v_fma_f64 v[43:44], v[57:58], s[14:15], v[43:44]
	;; [unrolled: 1-line block ×3, first 2 shown]
	s_delay_alu instid0(VALU_DEP_4) | instskip(NEXT) | instid1(VALU_DEP_4)
	v_fma_f64 v[33:34], v[37:38], s[18:19], v[33:34]
	v_fma_f64 v[37:38], v[37:38], s[18:19], v[41:42]
	v_add_f64_e32 v[41:42], v[24:25], v[51:52]
	v_fma_f64 v[43:44], v[59:60], s[0:1], v[43:44]
	v_fma_f64 v[35:36], v[39:40], s[18:19], v[35:36]
	s_delay_alu instid0(VALU_DEP_3) | instskip(SKIP_4) | instid1(VALU_DEP_4)
	v_fma_f64 v[77:78], v[41:42], -0.5, v[20:21]
	v_add_f64_e32 v[41:42], v[26:27], v[49:50]
	v_add_f64_e32 v[20:21], v[20:21], v[24:25]
	v_fma_f64 v[39:40], v[39:40], s[18:19], v[43:44]
	v_add_f64_e64 v[24:25], v[28:29], -v[24:25]
	v_fma_f64 v[79:80], v[41:42], -0.5, v[22:23]
	v_add_f64_e32 v[22:23], v[22:23], v[26:27]
	v_add_f64_e32 v[20:21], v[20:21], v[28:29]
	v_add_f64_e64 v[26:27], v[30:31], -v[26:27]
	v_add_f64_e64 v[28:29], v[45:46], -v[51:52]
	s_delay_alu instid0(VALU_DEP_4) | instskip(NEXT) | instid1(VALU_DEP_4)
	v_add_f64_e32 v[22:23], v[22:23], v[30:31]
	v_add_f64_e32 v[20:21], v[20:21], v[45:46]
	v_fma_f64 v[30:31], v[55:56], s[14:15], v[77:78]
	v_fma_f64 v[45:46], v[59:60], s[14:15], v[79:80]
	v_add_f64_e32 v[24:25], v[24:25], v[28:29]
	v_add_f64_e32 v[22:23], v[22:23], v[47:48]
	v_add_f64_e32 v[41:42], v[20:21], v[51:52]
	v_add_f64_e64 v[20:21], v[47:48], -v[49:50]
	v_fma_f64 v[47:48], v[59:60], s[16:17], v[79:80]
	v_fma_f64 v[28:29], v[57:58], s[10:11], v[45:46]
	v_add_f64_e64 v[79:80], v[67:68], -v[71:72]
	v_add_f64_e32 v[43:44], v[22:23], v[49:50]
	v_fma_f64 v[22:23], v[55:56], s[16:17], v[77:78]
	v_add_f64_e32 v[20:21], v[26:27], v[20:21]
	v_fma_f64 v[26:27], v[53:54], s[10:11], v[30:31]
	v_fma_f64 v[30:31], v[57:58], s[0:1], v[47:48]
	v_add_f64_e64 v[77:78], v[63:64], -v[75:76]
	v_fma_f64 v[22:23], v[53:54], s[0:1], v[22:23]
	v_fma_f64 v[47:48], v[20:21], s[18:19], v[28:29]
	;; [unrolled: 1-line block ×4, first 2 shown]
	v_add_f64_e64 v[20:21], v[61:62], -v[65:66]
	v_add_f64_e32 v[28:29], v[65:66], v[69:70]
	v_add_f64_e32 v[30:31], v[67:68], v[71:72]
	v_fma_f64 v[45:46], v[24:25], s[18:19], v[22:23]
	v_add_f64_e64 v[22:23], v[73:74], -v[69:70]
	s_delay_alu instid0(VALU_DEP_1) | instskip(SKIP_2) | instid1(VALU_DEP_1)
	v_add_f64_e32 v[24:25], v[20:21], v[22:23]
	v_add_f64_e64 v[20:21], v[63:64], -v[67:68]
	v_add_f64_e64 v[22:23], v[75:76], -v[71:72]
	v_add_f64_e32 v[26:27], v[20:21], v[22:23]
	ds_load_b128 v[20:23], v168 offset:896
	s_wait_dscnt 0x0
	v_fma_f64 v[28:29], v[28:29], -0.5, v[20:21]
	v_fma_f64 v[30:31], v[30:31], -0.5, v[22:23]
	s_delay_alu instid0(VALU_DEP_2) | instskip(NEXT) | instid1(VALU_DEP_2)
	v_fma_f64 v[53:54], v[77:78], s[14:15], v[28:29]
	v_fma_f64 v[55:56], v[97:98], s[16:17], v[30:31]
	;; [unrolled: 1-line block ×4, first 2 shown]
	s_delay_alu instid0(VALU_DEP_4) | instskip(NEXT) | instid1(VALU_DEP_4)
	v_fma_f64 v[53:54], v[79:80], s[0:1], v[53:54]
	v_fma_f64 v[55:56], v[99:100], s[10:11], v[55:56]
	s_delay_alu instid0(VALU_DEP_4) | instskip(NEXT) | instid1(VALU_DEP_4)
	v_fma_f64 v[28:29], v[79:80], s[10:11], v[28:29]
	v_fma_f64 v[30:31], v[99:100], s[0:1], v[30:31]
	;; [unrolled: 3-line block ×4, first 2 shown]
	v_add_f64_e32 v[24:25], v[61:62], v[73:74]
	v_add_f64_e32 v[26:27], v[63:64], v[75:76]
	v_add_f64_e64 v[28:29], v[65:66], -v[61:62]
	v_add_f64_e64 v[30:31], v[67:68], -v[63:64]
	s_delay_alu instid0(VALU_DEP_4) | instskip(NEXT) | instid1(VALU_DEP_4)
	v_fma_f64 v[24:25], v[24:25], -0.5, v[20:21]
	v_fma_f64 v[26:27], v[26:27], -0.5, v[22:23]
	v_add_f64_e32 v[20:21], v[20:21], v[61:62]
	v_add_f64_e32 v[22:23], v[22:23], v[63:64]
	s_delay_alu instid0(VALU_DEP_2) | instskip(NEXT) | instid1(VALU_DEP_2)
	v_add_f64_e32 v[20:21], v[20:21], v[65:66]
	v_add_f64_e32 v[22:23], v[22:23], v[67:68]
	v_add_f64_e64 v[65:66], v[69:70], -v[73:74]
	v_fma_f64 v[67:68], v[99:100], s[14:15], v[26:27]
	v_fma_f64 v[26:27], v[99:100], s[16:17], v[26:27]
	v_add_f64_e64 v[99:100], v[87:88], -v[91:92]
	v_add_f64_e32 v[20:21], v[20:21], v[69:70]
	v_add_f64_e32 v[22:23], v[22:23], v[71:72]
	v_add_f64_e32 v[28:29], v[28:29], v[65:66]
	v_fma_f64 v[26:27], v[97:98], s[0:1], v[26:27]
	s_delay_alu instid0(VALU_DEP_4) | instskip(NEXT) | instid1(VALU_DEP_4)
	v_add_f64_e32 v[61:62], v[20:21], v[73:74]
	v_add_f64_e32 v[63:64], v[22:23], v[75:76]
	v_add_f64_e64 v[20:21], v[71:72], -v[75:76]
	v_fma_f64 v[22:23], v[79:80], s[16:17], v[24:25]
	v_fma_f64 v[24:25], v[79:80], s[14:15], v[24:25]
	s_delay_alu instid0(VALU_DEP_3) | instskip(NEXT) | instid1(VALU_DEP_3)
	v_add_f64_e32 v[20:21], v[30:31], v[20:21]
	v_fma_f64 v[22:23], v[77:78], s[0:1], v[22:23]
	v_fma_f64 v[30:31], v[97:98], s[10:11], v[67:68]
	s_delay_alu instid0(VALU_DEP_4)
	v_fma_f64 v[24:25], v[77:78], s[10:11], v[24:25]
	v_add_f64_e64 v[97:98], v[83:84], -v[95:96]
	v_fma_f64 v[71:72], v[20:21], s[18:19], v[26:27]
	v_fma_f64 v[65:66], v[28:29], s[18:19], v[22:23]
	;; [unrolled: 1-line block ×3, first 2 shown]
	v_add_f64_e64 v[20:21], v[81:82], -v[85:86]
	v_add_f64_e64 v[22:23], v[93:94], -v[89:90]
	v_fma_f64 v[69:70], v[28:29], s[18:19], v[24:25]
	v_add_f64_e32 v[28:29], v[85:86], v[89:90]
	v_add_f64_e32 v[30:31], v[87:88], v[91:92]
	s_delay_alu instid0(VALU_DEP_4) | instskip(SKIP_2) | instid1(VALU_DEP_1)
	v_add_f64_e32 v[24:25], v[20:21], v[22:23]
	v_add_f64_e64 v[20:21], v[83:84], -v[87:88]
	v_add_f64_e64 v[22:23], v[95:96], -v[91:92]
	v_add_f64_e32 v[26:27], v[20:21], v[22:23]
	ds_load_b128 v[20:23], v168 offset:1792
	s_wait_dscnt 0x0
	v_fma_f64 v[28:29], v[28:29], -0.5, v[20:21]
	v_fma_f64 v[30:31], v[30:31], -0.5, v[22:23]
	s_delay_alu instid0(VALU_DEP_2) | instskip(NEXT) | instid1(VALU_DEP_2)
	v_fma_f64 v[73:74], v[97:98], s[14:15], v[28:29]
	v_fma_f64 v[75:76], v[122:123], s[16:17], v[30:31]
	;; [unrolled: 1-line block ×4, first 2 shown]
	s_delay_alu instid0(VALU_DEP_4) | instskip(NEXT) | instid1(VALU_DEP_4)
	v_fma_f64 v[73:74], v[99:100], s[0:1], v[73:74]
	v_fma_f64 v[75:76], v[144:145], s[10:11], v[75:76]
	s_delay_alu instid0(VALU_DEP_4) | instskip(NEXT) | instid1(VALU_DEP_4)
	v_fma_f64 v[28:29], v[99:100], s[10:11], v[28:29]
	v_fma_f64 v[30:31], v[144:145], s[0:1], v[30:31]
	s_delay_alu instid0(VALU_DEP_4) | instskip(NEXT) | instid1(VALU_DEP_4)
	v_fma_f64 v[73:74], v[24:25], s[18:19], v[73:74]
	v_fma_f64 v[75:76], v[26:27], s[18:19], v[75:76]
	s_delay_alu instid0(VALU_DEP_4) | instskip(NEXT) | instid1(VALU_DEP_4)
	v_fma_f64 v[77:78], v[24:25], s[18:19], v[28:29]
	v_fma_f64 v[79:80], v[26:27], s[18:19], v[30:31]
	v_add_f64_e32 v[24:25], v[81:82], v[93:94]
	v_add_f64_e32 v[26:27], v[83:84], v[95:96]
	v_add_f64_e64 v[28:29], v[85:86], -v[81:82]
	v_add_f64_e64 v[30:31], v[87:88], -v[83:84]
	s_delay_alu instid0(VALU_DEP_4) | instskip(NEXT) | instid1(VALU_DEP_4)
	v_fma_f64 v[24:25], v[24:25], -0.5, v[20:21]
	v_fma_f64 v[26:27], v[26:27], -0.5, v[22:23]
	v_add_f64_e32 v[20:21], v[20:21], v[81:82]
	v_add_f64_e32 v[22:23], v[22:23], v[83:84]
	s_delay_alu instid0(VALU_DEP_2) | instskip(NEXT) | instid1(VALU_DEP_2)
	v_add_f64_e32 v[20:21], v[20:21], v[85:86]
	v_add_f64_e32 v[22:23], v[22:23], v[87:88]
	v_add_f64_e64 v[85:86], v[89:90], -v[93:94]
	v_fma_f64 v[87:88], v[144:145], s[14:15], v[26:27]
	v_fma_f64 v[26:27], v[144:145], s[16:17], v[26:27]
	v_add_f64_e64 v[144:145], v[107:108], -v[116:117]
	v_add_f64_e32 v[20:21], v[20:21], v[89:90]
	v_add_f64_e32 v[22:23], v[22:23], v[91:92]
	;; [unrolled: 1-line block ×3, first 2 shown]
	v_fma_f64 v[26:27], v[122:123], s[0:1], v[26:27]
	s_delay_alu instid0(VALU_DEP_4) | instskip(NEXT) | instid1(VALU_DEP_4)
	v_add_f64_e32 v[81:82], v[20:21], v[93:94]
	v_add_f64_e32 v[83:84], v[22:23], v[95:96]
	v_add_f64_e64 v[20:21], v[91:92], -v[95:96]
	v_fma_f64 v[22:23], v[99:100], s[16:17], v[24:25]
	v_fma_f64 v[24:25], v[99:100], s[14:15], v[24:25]
	s_delay_alu instid0(VALU_DEP_3) | instskip(NEXT) | instid1(VALU_DEP_3)
	v_add_f64_e32 v[20:21], v[30:31], v[20:21]
	v_fma_f64 v[22:23], v[97:98], s[0:1], v[22:23]
	v_fma_f64 v[30:31], v[122:123], s[10:11], v[87:88]
	s_delay_alu instid0(VALU_DEP_4)
	v_fma_f64 v[24:25], v[97:98], s[10:11], v[24:25]
	v_add_f64_e64 v[122:123], v[103:104], -v[120:121]
	v_fma_f64 v[91:92], v[20:21], s[18:19], v[26:27]
	v_fma_f64 v[85:86], v[28:29], s[18:19], v[22:23]
	;; [unrolled: 1-line block ×3, first 2 shown]
	v_add_f64_e64 v[20:21], v[101:102], -v[105:106]
	v_add_f64_e64 v[22:23], v[118:119], -v[109:110]
	v_fma_f64 v[89:90], v[28:29], s[18:19], v[24:25]
	v_add_f64_e32 v[28:29], v[105:106], v[109:110]
	v_add_f64_e32 v[30:31], v[107:108], v[116:117]
	s_delay_alu instid0(VALU_DEP_4) | instskip(SKIP_2) | instid1(VALU_DEP_1)
	v_add_f64_e32 v[24:25], v[20:21], v[22:23]
	v_add_f64_e64 v[20:21], v[103:104], -v[107:108]
	v_add_f64_e64 v[22:23], v[120:121], -v[116:117]
	v_add_f64_e32 v[26:27], v[20:21], v[22:23]
	ds_load_b128 v[20:23], v168 offset:2688
	s_wait_dscnt 0x0
	v_fma_f64 v[28:29], v[28:29], -0.5, v[20:21]
	v_fma_f64 v[30:31], v[30:31], -0.5, v[22:23]
	s_delay_alu instid0(VALU_DEP_2) | instskip(NEXT) | instid1(VALU_DEP_2)
	v_fma_f64 v[93:94], v[122:123], s[14:15], v[28:29]
	v_fma_f64 v[95:96], v[146:147], s[16:17], v[30:31]
	v_fma_f64 v[28:29], v[122:123], s[16:17], v[28:29]
	v_fma_f64 v[30:31], v[146:147], s[14:15], v[30:31]
	s_delay_alu instid0(VALU_DEP_4) | instskip(NEXT) | instid1(VALU_DEP_4)
	v_fma_f64 v[93:94], v[144:145], s[0:1], v[93:94]
	v_fma_f64 v[95:96], v[148:149], s[10:11], v[95:96]
	s_delay_alu instid0(VALU_DEP_4) | instskip(NEXT) | instid1(VALU_DEP_4)
	v_fma_f64 v[28:29], v[144:145], s[10:11], v[28:29]
	v_fma_f64 v[30:31], v[148:149], s[0:1], v[30:31]
	;; [unrolled: 3-line block ×4, first 2 shown]
	v_add_f64_e32 v[24:25], v[101:102], v[118:119]
	v_add_f64_e32 v[26:27], v[103:104], v[120:121]
	v_add_f64_e64 v[28:29], v[105:106], -v[101:102]
	v_add_f64_e64 v[30:31], v[107:108], -v[103:104]
	s_delay_alu instid0(VALU_DEP_4) | instskip(NEXT) | instid1(VALU_DEP_4)
	v_fma_f64 v[24:25], v[24:25], -0.5, v[20:21]
	v_fma_f64 v[26:27], v[26:27], -0.5, v[22:23]
	v_add_f64_e32 v[20:21], v[20:21], v[101:102]
	v_add_f64_e32 v[22:23], v[22:23], v[103:104]
	s_delay_alu instid0(VALU_DEP_2) | instskip(NEXT) | instid1(VALU_DEP_2)
	v_add_f64_e32 v[20:21], v[20:21], v[105:106]
	v_add_f64_e32 v[22:23], v[22:23], v[107:108]
	v_add_f64_e64 v[105:106], v[109:110], -v[118:119]
	v_fma_f64 v[107:108], v[148:149], s[14:15], v[26:27]
	v_fma_f64 v[26:27], v[148:149], s[16:17], v[26:27]
	v_add_f64_e64 v[148:149], v[6:7], -v[16:17]
	v_add_f64_e32 v[20:21], v[20:21], v[109:110]
	v_add_f64_e32 v[22:23], v[22:23], v[116:117]
	;; [unrolled: 1-line block ×3, first 2 shown]
	v_fma_f64 v[26:27], v[146:147], s[0:1], v[26:27]
	s_delay_alu instid0(VALU_DEP_4) | instskip(NEXT) | instid1(VALU_DEP_4)
	v_add_f64_e32 v[101:102], v[20:21], v[118:119]
	v_add_f64_e32 v[103:104], v[22:23], v[120:121]
	v_add_f64_e64 v[20:21], v[116:117], -v[120:121]
	v_fma_f64 v[22:23], v[144:145], s[16:17], v[24:25]
	v_fma_f64 v[24:25], v[144:145], s[14:15], v[24:25]
	v_add_f64_e64 v[144:145], v[4:5], -v[18:19]
	s_delay_alu instid0(VALU_DEP_4) | instskip(NEXT) | instid1(VALU_DEP_4)
	v_add_f64_e32 v[20:21], v[30:31], v[20:21]
	v_fma_f64 v[22:23], v[122:123], s[0:1], v[22:23]
	v_fma_f64 v[30:31], v[146:147], s[10:11], v[107:108]
	;; [unrolled: 1-line block ×3, first 2 shown]
	v_add_f64_e64 v[122:123], v[12:13], -v[8:9]
	v_add_f64_e64 v[146:147], v[10:11], -v[14:15]
	v_fma_f64 v[118:119], v[20:21], s[18:19], v[26:27]
	v_fma_f64 v[105:106], v[28:29], s[18:19], v[22:23]
	;; [unrolled: 1-line block ×3, first 2 shown]
	v_add_f64_e64 v[20:21], v[10:11], -v[6:7]
	v_add_f64_e64 v[22:23], v[14:15], -v[16:17]
	v_fma_f64 v[116:117], v[28:29], s[18:19], v[24:25]
	ds_load_b128 v[28:31], v168 offset:3584
	global_wb scope:SCOPE_SE
	s_wait_dscnt 0x0
	s_barrier_signal -1
	s_barrier_wait -1
	global_inv scope:SCOPE_SE
	v_add_f64_e32 v[24:25], v[20:21], v[22:23]
	v_add_f64_e64 v[20:21], v[12:13], -v[4:5]
	v_add_f64_e64 v[22:23], v[8:9], -v[18:19]
	s_delay_alu instid0(VALU_DEP_1) | instskip(SKIP_1) | instid1(VALU_DEP_1)
	v_add_f64_e32 v[26:27], v[20:21], v[22:23]
	v_add_f64_e32 v[20:21], v[6:7], v[16:17]
	v_fma_f64 v[109:110], v[20:21], -0.5, v[28:29]
	v_add_f64_e32 v[20:21], v[4:5], v[18:19]
	s_delay_alu instid0(VALU_DEP_1) | instskip(NEXT) | instid1(VALU_DEP_3)
	v_fma_f64 v[120:121], v[20:21], -0.5, v[30:31]
	v_fma_f64 v[20:21], v[122:123], s[16:17], v[109:110]
	v_fma_f64 v[109:110], v[122:123], s[14:15], v[109:110]
	s_delay_alu instid0(VALU_DEP_3) | instskip(SKIP_1) | instid1(VALU_DEP_4)
	v_fma_f64 v[22:23], v[146:147], s[14:15], v[120:121]
	v_fma_f64 v[120:121], v[146:147], s[16:17], v[120:121]
	;; [unrolled: 1-line block ×3, first 2 shown]
	s_delay_alu instid0(VALU_DEP_4) | instskip(NEXT) | instid1(VALU_DEP_4)
	v_fma_f64 v[109:110], v[144:145], s[10:11], v[109:110]
	v_fma_f64 v[22:23], v[148:149], s[10:11], v[22:23]
	s_delay_alu instid0(VALU_DEP_4) | instskip(NEXT) | instid1(VALU_DEP_4)
	v_fma_f64 v[120:121], v[148:149], s[0:1], v[120:121]
	v_fma_f64 v[20:21], v[24:25], s[18:19], v[20:21]
	s_delay_alu instid0(VALU_DEP_4) | instskip(SKIP_4) | instid1(VALU_DEP_4)
	v_fma_f64 v[24:25], v[24:25], s[18:19], v[109:110]
	v_add_f64_e32 v[109:110], v[10:11], v[14:15]
	v_fma_f64 v[22:23], v[26:27], s[18:19], v[22:23]
	v_fma_f64 v[26:27], v[26:27], s[18:19], v[120:121]
	v_add_f64_e32 v[120:121], v[12:13], v[8:9]
	v_fma_f64 v[109:110], v[109:110], -0.5, v[28:29]
	v_add_f64_e32 v[28:29], v[28:29], v[6:7]
	v_add_f64_e64 v[6:7], v[6:7], -v[10:11]
	s_delay_alu instid0(VALU_DEP_4) | instskip(SKIP_3) | instid1(VALU_DEP_3)
	v_fma_f64 v[120:121], v[120:121], -0.5, v[30:31]
	v_add_f64_e32 v[30:31], v[30:31], v[4:5]
	v_add_f64_e64 v[4:5], v[4:5], -v[12:13]
	v_add_f64_e32 v[10:11], v[28:29], v[10:11]
	v_add_f64_e32 v[28:29], v[30:31], v[12:13]
	v_fma_f64 v[30:31], v[148:149], s[14:15], v[120:121]
	s_delay_alu instid0(VALU_DEP_3) | instskip(SKIP_1) | instid1(VALU_DEP_4)
	v_add_f64_e32 v[10:11], v[10:11], v[14:15]
	v_add_f64_e64 v[14:15], v[16:17], -v[14:15]
	v_add_f64_e32 v[12:13], v[28:29], v[8:9]
	v_add_f64_e64 v[8:9], v[18:19], -v[8:9]
	s_delay_alu instid0(VALU_DEP_4)
	v_add_f64_e32 v[10:11], v[10:11], v[16:17]
	v_fma_f64 v[16:17], v[144:145], s[14:15], v[109:110]
	v_fma_f64 v[28:29], v[148:149], s[16:17], v[120:121]
	v_add_f64_e32 v[14:15], v[6:7], v[14:15]
	v_add_f64_e32 v[12:13], v[12:13], v[18:19]
	v_fma_f64 v[18:19], v[144:145], s[16:17], v[109:110]
	v_add_f64_e32 v[8:9], v[4:5], v[8:9]
	v_fma_f64 v[4:5], v[122:123], s[0:1], v[16:17]
	v_fma_f64 v[6:7], v[146:147], s[10:11], v[28:29]
	s_delay_alu instid0(VALU_DEP_4) | instskip(SKIP_1) | instid1(VALU_DEP_4)
	v_fma_f64 v[16:17], v[122:123], s[10:11], v[18:19]
	v_fma_f64 v[18:19], v[146:147], s[0:1], v[30:31]
	v_fma_f64 v[4:5], v[14:15], s[18:19], v[4:5]
	s_delay_alu instid0(VALU_DEP_4) | instskip(SKIP_4) | instid1(VALU_DEP_1)
	v_fma_f64 v[6:7], v[8:9], s[18:19], v[6:7]
	v_cmp_gt_u16_e64 s0, 32, v236
	v_fma_f64 v[28:29], v[14:15], s[18:19], v[16:17]
	v_fma_f64 v[30:31], v[8:9], s[18:19], v[18:19]
	v_lshrrev_b32_e32 v8, 3, v236
	v_mul_u32_u24_e32 v8, 40, v8
	s_delay_alu instid0(VALU_DEP_1) | instskip(NEXT) | instid1(VALU_DEP_1)
	v_or_b32_e32 v8, v8, v32
	v_lshlrev_b32_e32 v8, 4, v8
	ds_store_b128 v8, v[41:44]
	ds_store_b128 v8, v[33:36] offset:128
	ds_store_b128 v8, v[45:48] offset:256
	;; [unrolled: 1-line block ×3, first 2 shown]
	scratch_store_b32 off, v8, off offset:624 ; 4-byte Folded Spill
	ds_store_b128 v8, v[37:40] offset:512
	v_lshrrev_b32_e32 v8, 3, v233
	s_delay_alu instid0(VALU_DEP_1) | instskip(NEXT) | instid1(VALU_DEP_1)
	v_mul_u32_u24_e32 v8, 40, v8
	v_or_b32_e32 v8, v8, v32
	s_delay_alu instid0(VALU_DEP_1)
	v_lshlrev_b32_e32 v8, 4, v8
	ds_store_b128 v8, v[61:64]
	ds_store_b128 v8, v[53:56] offset:128
	ds_store_b128 v8, v[65:68] offset:256
	;; [unrolled: 1-line block ×3, first 2 shown]
	scratch_store_b32 off, v8, off offset:620 ; 4-byte Folded Spill
	ds_store_b128 v8, v[57:60] offset:512
	v_lshrrev_b32_e32 v8, 3, v232
	s_delay_alu instid0(VALU_DEP_1) | instskip(NEXT) | instid1(VALU_DEP_1)
	v_mul_u32_u24_e32 v8, 40, v8
	v_or_b32_e32 v8, v8, v32
	s_delay_alu instid0(VALU_DEP_1)
	v_lshlrev_b32_e32 v8, 4, v8
	ds_store_b128 v8, v[81:84]
	ds_store_b128 v8, v[73:76] offset:128
	ds_store_b128 v8, v[85:88] offset:256
	;; [unrolled: 1-line block ×3, first 2 shown]
	scratch_store_b32 off, v8, off offset:596 ; 4-byte Folded Spill
	ds_store_b128 v8, v[77:80] offset:512
	v_lshrrev_b32_e32 v8, 3, v241
                                        ; implicit-def: $vgpr84_vgpr85
	s_delay_alu instid0(VALU_DEP_1) | instskip(NEXT) | instid1(VALU_DEP_1)
	v_mul_u32_u24_e32 v8, 40, v8
	v_or_b32_e32 v8, v8, v32
	s_delay_alu instid0(VALU_DEP_1)
	v_lshlrev_b32_e32 v14, 4, v8
	v_lshrrev_b32_e32 v8, 3, v240
	ds_store_b128 v14, v[101:104]
	ds_store_b128 v14, v[93:96] offset:128
	v_mul_u32_u24_e32 v8, 40, v8
	ds_store_b128 v14, v[105:108] offset:256
	ds_store_b128 v14, v[116:119] offset:384
	scratch_store_b32 off, v14, off offset:592 ; 4-byte Folded Spill
                                        ; implicit-def: $vgpr92_vgpr93
	v_or_b32_e32 v8, v8, v32
	s_delay_alu instid0(VALU_DEP_1)
	v_lshlrev_b32_e32 v15, 4, v8
	ds_store_b128 v14, v[97:100] offset:512
	ds_store_b128 v15, v[10:13]
	ds_store_b128 v15, v[4:7] offset:128
	ds_store_b128 v15, v[20:23] offset:256
	;; [unrolled: 1-line block ×3, first 2 shown]
	scratch_store_b32 off, v15, off offset:600 ; 4-byte Folded Spill
	ds_store_b128 v15, v[28:31] offset:512
	global_wb scope:SCOPE_SE
	s_wait_storecnt_dscnt 0x0
	s_barrier_signal -1
	s_barrier_wait -1
	global_inv scope:SCOPE_SE
	ds_load_b128 v[16:19], v168
	ds_load_b128 v[12:15], v168 offset:896
	ds_load_b128 v[100:103], v168 offset:6400
	;; [unrolled: 1-line block ×20, first 2 shown]
	s_and_saveexec_b32 s1, s0
	s_cbranch_execz .LBB0_17
; %bb.16:
	ds_load_b128 v[4:7], v168 offset:2688
	ds_load_b128 v[20:23], v168 offset:5888
	;; [unrolled: 1-line block ×7, first 2 shown]
.LBB0_17:
	s_wait_alu 0xfffe
	s_or_b32 exec_lo, exec_lo, s1
	v_cmp_gt_u16_e64 s1, 40, v236
	v_subrev_nc_u32_e32 v116, 40, v236
	s_mov_b32 s10, 0xaaaaaaaa
	s_mov_b32 s22, 0xe976ee23
	;; [unrolled: 1-line block ×4, first 2 shown]
	s_wait_alu 0xf1ff
	v_cndmask_b32_e64 v169, v116, v236, s1
	s_mov_b32 s20, 0x429ad128
	s_mov_b32 s24, 0x37e14327
	;; [unrolled: 1-line block ×4, first 2 shown]
	v_mul_i32_i24_e32 v116, 0x60, v169
	v_mul_hi_i32_i24_e32 v117, 0x60, v169
	s_mov_b32 s16, 0x36b3c0b5
	s_mov_b32 s18, 0x5476071b
	;; [unrolled: 1-line block ×3, first 2 shown]
	v_add_co_u32 v120, s1, s2, v116
	s_wait_alu 0xf1ff
	v_add_co_ci_u32_e64 v121, s1, s3, v117, s1
	v_cmp_lt_u16_e64 s1, 39, v236
	s_mov_b32 s17, 0x3fac98ee
	s_mov_b32 s19, 0x3fe77f67
	global_load_b128 v[144:147], v[120:121], off offset:608
	s_mov_b32 s27, 0xbfe77f67
	s_mov_b32 s29, 0x3fd5d0dc
	;; [unrolled: 1-line block ×4, first 2 shown]
	s_wait_alu 0xfffe
	s_mov_b32 s26, s18
	s_mov_b32 s14, 0x37c3f68c
	;; [unrolled: 1-line block ×3, first 2 shown]
	s_wait_loadcnt_dscnt 0xc
	v_mul_f64_e32 v[116:117], v[110:111], v[146:147]
	scratch_store_b128 off, v[144:147], off offset:604 ; 16-byte Folded Spill
	v_fma_f64 v[116:117], v[108:109], v[144:145], -v[116:117]
	v_mul_f64_e32 v[108:109], v[108:109], v[146:147]
	s_delay_alu instid0(VALU_DEP_1)
	v_fma_f64 v[108:109], v[110:111], v[144:145], v[108:109]
	global_load_b128 v[144:147], v[120:121], off offset:624
	s_wait_loadcnt 0x0
	v_mul_f64_e32 v[110:111], v[102:103], v[146:147]
	scratch_store_b128 off, v[144:147], off offset:676 ; 16-byte Folded Spill
	v_fma_f64 v[110:111], v[100:101], v[144:145], -v[110:111]
	v_mul_f64_e32 v[100:101], v[100:101], v[146:147]
	s_delay_alu instid0(VALU_DEP_1)
	v_fma_f64 v[100:101], v[102:103], v[144:145], v[100:101]
	global_load_b128 v[144:147], v[120:121], off offset:672
	s_wait_loadcnt_dscnt 0x4
	v_mul_f64_e32 v[102:103], v[106:107], v[146:147]
	scratch_store_b128 off, v[144:147], off offset:692 ; 16-byte Folded Spill
	v_fma_f64 v[118:119], v[104:105], v[144:145], -v[102:103]
	v_mul_f64_e32 v[102:103], v[104:105], v[146:147]
	s_delay_alu instid0(VALU_DEP_1)
	v_fma_f64 v[102:103], v[106:107], v[144:145], v[102:103]
	global_load_b128 v[144:147], v[120:121], off offset:688
	v_add_f64_e32 v[176:177], v[100:101], v[102:103]
	s_wait_loadcnt 0x0
	v_mul_f64_e32 v[104:105], v[98:99], v[146:147]
	scratch_store_b128 off, v[144:147], off offset:708 ; 16-byte Folded Spill
	v_fma_f64 v[104:105], v[96:97], v[144:145], -v[104:105]
	v_mul_f64_e32 v[96:97], v[96:97], v[146:147]
	s_delay_alu instid0(VALU_DEP_1)
	v_fma_f64 v[96:97], v[98:99], v[144:145], v[96:97]
	global_load_b128 v[144:147], v[120:121], off offset:640
	v_add_f64_e32 v[174:175], v[108:109], v[96:97]
	s_wait_loadcnt 0x0
	v_mul_f64_e32 v[98:99], v[90:91], v[146:147]
	scratch_store_b128 off, v[144:147], off offset:660 ; 16-byte Folded Spill
	v_fma_f64 v[106:107], v[88:89], v[144:145], -v[98:99]
	v_mul_f64_e32 v[88:89], v[88:89], v[146:147]
	s_delay_alu instid0(VALU_DEP_1)
	v_fma_f64 v[98:99], v[90:91], v[144:145], v[88:89]
	global_load_b128 v[144:147], v[120:121], off offset:656
	s_wait_loadcnt 0x0
	v_mul_f64_e32 v[88:89], v[82:83], v[146:147]
	scratch_store_b128 off, v[144:147], off offset:724 ; 16-byte Folded Spill
	v_fma_f64 v[122:123], v[80:81], v[144:145], -v[88:89]
	v_mul_f64_e32 v[80:81], v[80:81], v[146:147]
	s_delay_alu instid0(VALU_DEP_2) | instskip(NEXT) | instid1(VALU_DEP_2)
	v_add_f64_e32 v[220:221], v[106:107], v[122:123]
	v_fma_f64 v[120:121], v[82:83], v[144:145], v[80:81]
	v_and_b32_e32 v80, 0xff, v233
	v_add_f64_e64 v[106:107], v[122:123], -v[106:107]
	s_delay_alu instid0(VALU_DEP_2) | instskip(NEXT) | instid1(VALU_DEP_1)
	v_mul_lo_u16 v80, 0xcd, v80
	v_lshrrev_b16 v170, 13, v80
	s_delay_alu instid0(VALU_DEP_1) | instskip(NEXT) | instid1(VALU_DEP_1)
	v_mul_lo_u16 v80, v170, 40
	v_sub_nc_u16 v80, v233, v80
	s_delay_alu instid0(VALU_DEP_1) | instskip(NEXT) | instid1(VALU_DEP_1)
	v_and_b32_e32 v171, 0xff, v80
	v_mad_co_u64_u32 v[144:145], null, 0x60, v171, s[2:3]
	v_add_f64_e32 v[178:179], v[98:99], v[120:121]
	s_clause 0x2
	global_load_b128 v[88:91], v[144:145], off offset:608
	global_load_b128 v[150:153], v[144:145], off offset:656
	;; [unrolled: 1-line block ×3, first 2 shown]
	v_add_f64_e64 v[98:99], v[120:121], -v[98:99]
	global_load_b128 v[146:149], v[144:145], off offset:672
	s_wait_loadcnt 0x3
	v_mul_f64_e32 v[80:81], v[78:79], v[90:91]
	scratch_store_b128 off, v[88:91], off offset:788 ; 16-byte Folded Spill
	s_wait_loadcnt 0x2
	scratch_store_b128 off, v[150:153], off offset:756 ; 16-byte Folded Spill
	s_wait_loadcnt 0x0
	scratch_store_b128 off, v[146:149], off offset:772 ; 16-byte Folded Spill
	v_fma_f64 v[80:81], v[76:77], v[88:89], -v[80:81]
	v_mul_f64_e32 v[76:77], v[76:77], v[90:91]
	s_delay_alu instid0(VALU_DEP_1)
	v_fma_f64 v[76:77], v[78:79], v[88:89], v[76:77]
	global_load_b128 v[88:91], v[144:145], off offset:624
	s_wait_loadcnt 0x0
	v_mul_f64_e32 v[78:79], v[70:71], v[90:91]
	scratch_store_b128 off, v[88:91], off offset:804 ; 16-byte Folded Spill
	v_fma_f64 v[82:83], v[68:69], v[88:89], -v[78:79]
	v_mul_f64_e32 v[68:69], v[68:69], v[90:91]
	s_delay_alu instid0(VALU_DEP_1) | instskip(SKIP_2) | instid1(VALU_DEP_1)
	v_fma_f64 v[78:79], v[70:71], v[88:89], v[68:69]
	s_wait_dscnt 0x2
	v_mul_f64_e32 v[68:69], v[74:75], v[148:149]
	v_fma_f64 v[88:89], v[72:73], v[146:147], -v[68:69]
	v_mul_f64_e32 v[68:69], v[72:73], v[148:149]
	s_delay_alu instid0(VALU_DEP_2) | instskip(NEXT) | instid1(VALU_DEP_2)
	v_add_f64_e32 v[184:185], v[82:83], v[88:89]
	v_fma_f64 v[72:73], v[74:75], v[146:147], v[68:69]
	v_mul_f64_e32 v[68:69], v[66:67], v[202:203]
	s_delay_alu instid0(VALU_DEP_2) | instskip(NEXT) | instid1(VALU_DEP_2)
	v_add_f64_e32 v[192:193], v[78:79], v[72:73]
	v_fma_f64 v[90:91], v[64:65], v[200:201], -v[68:69]
	v_mul_f64_e32 v[64:65], v[64:65], v[202:203]
	v_add_f64_e64 v[72:73], v[78:79], -v[72:73]
	s_delay_alu instid0(VALU_DEP_3) | instskip(NEXT) | instid1(VALU_DEP_3)
	v_add_f64_e32 v[182:183], v[80:81], v[90:91]
	v_fma_f64 v[74:75], v[66:67], v[200:201], v[64:65]
	v_and_b32_e32 v64, 0xff, v232
	v_add_f64_e64 v[80:81], v[80:81], -v[90:91]
	s_delay_alu instid0(VALU_DEP_2) | instskip(NEXT) | instid1(VALU_DEP_1)
	v_mul_lo_u16 v64, 0xcd, v64
	v_lshrrev_b16 v222, 13, v64
	s_delay_alu instid0(VALU_DEP_1) | instskip(NEXT) | instid1(VALU_DEP_1)
	v_mul_lo_u16 v64, v222, 40
	v_sub_nc_u16 v64, v232, v64
	s_delay_alu instid0(VALU_DEP_1) | instskip(NEXT) | instid1(VALU_DEP_1)
	v_and_b32_e32 v223, 0xff, v64
	v_mad_co_u64_u32 v[146:147], null, 0x60, v223, s[2:3]
	v_add_f64_e32 v[190:191], v[76:77], v[74:75]
	s_clause 0x3
	global_load_b128 v[204:207], v[146:147], off offset:608
	global_load_b128 v[208:211], v[146:147], off offset:624
	;; [unrolled: 1-line block ×4, first 2 shown]
	v_add_f64_e64 v[90:91], v[192:193], -v[190:191]
	s_wait_loadcnt 0x3
	v_mul_f64_e32 v[64:65], v[62:63], v[206:207]
	s_delay_alu instid0(VALU_DEP_1) | instskip(SKIP_1) | instid1(VALU_DEP_1)
	v_fma_f64 v[64:65], v[60:61], v[204:205], -v[64:65]
	v_mul_f64_e32 v[60:61], v[60:61], v[206:207]
	v_fma_f64 v[60:61], v[62:63], v[204:205], v[60:61]
	s_wait_loadcnt 0x2
	v_mul_f64_e32 v[62:63], v[54:55], v[210:211]
	s_delay_alu instid0(VALU_DEP_1) | instskip(SKIP_1) | instid1(VALU_DEP_1)
	v_fma_f64 v[66:67], v[52:53], v[208:209], -v[62:63]
	v_mul_f64_e32 v[52:53], v[52:53], v[210:211]
	v_fma_f64 v[62:63], v[54:55], v[208:209], v[52:53]
	s_wait_loadcnt_dscnt 0x101
	v_mul_f64_e32 v[52:53], v[58:59], v[198:199]
	s_delay_alu instid0(VALU_DEP_1) | instskip(SKIP_1) | instid1(VALU_DEP_2)
	v_fma_f64 v[68:69], v[56:57], v[196:197], -v[52:53]
	v_mul_f64_e32 v[52:53], v[56:57], v[198:199]
	v_add_f64_e32 v[216:217], v[66:67], v[68:69]
	s_delay_alu instid0(VALU_DEP_2) | instskip(SKIP_2) | instid1(VALU_DEP_2)
	v_fma_f64 v[56:57], v[58:59], v[196:197], v[52:53]
	s_wait_loadcnt_dscnt 0x0
	v_mul_f64_e32 v[52:53], v[50:51], v[214:215]
	v_add_f64_e32 v[218:219], v[62:63], v[56:57]
	s_delay_alu instid0(VALU_DEP_2) | instskip(SKIP_1) | instid1(VALU_DEP_2)
	v_fma_f64 v[70:71], v[48:49], v[212:213], -v[52:53]
	v_mul_f64_e32 v[48:49], v[48:49], v[214:215]
	v_add_f64_e32 v[156:157], v[64:65], v[70:71]
	s_delay_alu instid0(VALU_DEP_2) | instskip(SKIP_1) | instid1(VALU_DEP_1)
	v_fma_f64 v[58:59], v[50:51], v[212:213], v[48:49]
	v_and_b32_e32 v48, 0xff, v241
	v_mul_lo_u16 v48, 0xcd, v48
	s_delay_alu instid0(VALU_DEP_1) | instskip(NEXT) | instid1(VALU_DEP_1)
	v_lshrrev_b16 v48, 13, v48
	v_mul_lo_u16 v48, v48, 40
	s_delay_alu instid0(VALU_DEP_1) | instskip(NEXT) | instid1(VALU_DEP_1)
	v_sub_nc_u16 v48, v241, v48
	v_and_b32_e32 v48, 0xff, v48
	s_delay_alu instid0(VALU_DEP_1)
	v_mad_co_u64_u32 v[148:149], null, 0x60, v48, s[2:3]
	scratch_store_b32 off, v48, off offset:444 ; 4-byte Folded Spill
	v_add_f64_e32 v[160:161], v[60:61], v[58:59]
	global_load_b128 v[50:53], v[148:149], off offset:608
	v_add_f64_e64 v[58:59], v[60:61], -v[58:59]
	v_add_f64_e64 v[60:61], v[216:217], -v[156:157]
	s_wait_loadcnt 0x0
	v_mul_f64_e32 v[48:49], v[22:23], v[52:53]
	scratch_store_b128 off, v[50:53], off offset:836 ; 16-byte Folded Spill
	v_fma_f64 v[48:49], v[20:21], v[50:51], -v[48:49]
	v_mul_f64_e32 v[20:21], v[20:21], v[52:53]
	s_delay_alu instid0(VALU_DEP_1)
	v_fma_f64 v[20:21], v[22:23], v[50:51], v[20:21]
	global_load_b128 v[50:53], v[148:149], off offset:624
	s_wait_loadcnt 0x0
	v_mul_f64_e32 v[22:23], v[26:27], v[52:53]
	scratch_store_b128 off, v[50:53], off offset:852 ; 16-byte Folded Spill
	v_fma_f64 v[22:23], v[24:25], v[50:51], -v[22:23]
	v_mul_f64_e32 v[24:25], v[24:25], v[52:53]
	global_load_b128 v[52:55], v[148:149], off offset:672
	v_fma_f64 v[24:25], v[26:27], v[50:51], v[24:25]
	s_wait_loadcnt 0x0
	v_mul_f64_e32 v[26:27], v[86:87], v[54:55]
	v_mul_f64_e32 v[50:51], v[84:85], v[54:55]
	scratch_store_b128 off, v[52:55], off offset:868 ; 16-byte Folded Spill
	v_fma_f64 v[26:27], v[84:85], v[52:53], -v[26:27]
	v_fma_f64 v[50:51], v[86:87], v[52:53], v[50:51]
	global_load_b128 v[84:87], v[148:149], off offset:688
	s_wait_loadcnt 0x0
	v_mul_f64_e32 v[52:53], v[94:95], v[86:87]
	v_mul_f64_e32 v[54:55], v[92:93], v[86:87]
	s_delay_alu instid0(VALU_DEP_2) | instskip(NEXT) | instid1(VALU_DEP_2)
	v_fma_f64 v[52:53], v[92:93], v[84:85], -v[52:53]
	v_fma_f64 v[54:55], v[94:95], v[84:85], v[54:55]
	global_load_b128 v[92:95], v[144:145], off offset:640
	scratch_store_b128 off, v[84:87], off offset:884 ; 16-byte Folded Spill
	s_wait_loadcnt 0x0
	scratch_store_b128 off, v[92:95], off offset:740 ; 16-byte Folded Spill
	v_mul_f64_e32 v[84:85], v[46:47], v[94:95]
	s_delay_alu instid0(VALU_DEP_1) | instskip(SKIP_2) | instid1(VALU_DEP_2)
	v_fma_f64 v[84:85], v[44:45], v[92:93], -v[84:85]
	v_mul_f64_e32 v[44:45], v[44:45], v[94:95]
	v_add_f64_e32 v[94:95], v[110:111], v[118:119]
	v_fma_f64 v[46:47], v[46:47], v[92:93], v[44:45]
	v_mul_f64_e32 v[44:45], v[34:35], v[152:153]
	s_delay_alu instid0(VALU_DEP_1) | instskip(SKIP_1) | instid1(VALU_DEP_2)
	v_fma_f64 v[92:93], v[32:33], v[150:151], -v[44:45]
	v_mul_f64_e32 v[32:33], v[32:33], v[152:153]
	v_add_f64_e32 v[186:187], v[84:85], v[92:93]
	s_delay_alu instid0(VALU_DEP_2)
	v_fma_f64 v[86:87], v[34:35], v[150:151], v[32:33]
	s_clause 0x1
	global_load_b128 v[150:153], v[146:147], off offset:640
	global_load_b128 v[144:147], v[146:147], off offset:656
	v_add_f64_e32 v[194:195], v[46:47], v[86:87]
	v_add_f64_e64 v[46:47], v[86:87], -v[46:47]
	v_add_f64_e64 v[86:87], v[184:185], -v[182:183]
	s_delay_alu instid0(VALU_DEP_2)
	v_add_f64_e32 v[78:79], v[46:47], v[72:73]
	s_wait_loadcnt 0x1
	v_mul_f64_e32 v[32:33], v[42:43], v[152:153]
	scratch_store_b128 off, v[150:153], off offset:628 ; 16-byte Folded Spill
	s_wait_loadcnt 0x0
	scratch_store_b128 off, v[144:147], off offset:644 ; 16-byte Folded Spill
	v_fma_f64 v[44:45], v[40:41], v[150:151], -v[32:33]
	v_mul_f64_e32 v[32:33], v[40:41], v[152:153]
	v_add_f64_e32 v[152:153], v[24:25], v[50:51]
	s_delay_alu instid0(VALU_DEP_2) | instskip(SKIP_2) | instid1(VALU_DEP_2)
	v_fma_f64 v[40:41], v[42:43], v[150:151], v[32:33]
	v_mul_f64_e32 v[32:33], v[38:39], v[146:147]
	v_add_f64_e32 v[150:151], v[20:21], v[54:55]
	v_fma_f64 v[42:43], v[36:37], v[144:145], -v[32:33]
	v_mul_f64_e32 v[32:33], v[36:37], v[146:147]
	s_delay_alu instid0(VALU_DEP_2) | instskip(NEXT) | instid1(VALU_DEP_2)
	v_add_f64_e32 v[158:159], v[44:45], v[42:43]
	v_fma_f64 v[36:37], v[38:39], v[144:145], v[32:33]
	global_load_b128 v[144:147], v[148:149], off offset:640
	v_add_f64_e32 v[38:39], v[116:117], v[104:105]
	v_add_f64_e64 v[104:105], v[116:117], -v[104:105]
	v_add_f64_e64 v[116:117], v[178:179], -v[176:177]
	;; [unrolled: 1-line block ×5, first 2 shown]
	v_add_f64_e32 v[162:163], v[40:41], v[36:37]
	v_add_f64_e64 v[56:57], v[36:37], -v[40:41]
	s_wait_loadcnt 0x0
	v_mul_f64_e32 v[32:33], v[30:31], v[146:147]
	scratch_store_b128 off, v[144:147], off offset:900 ; 16-byte Folded Spill
	v_fma_f64 v[32:33], v[28:29], v[144:145], -v[32:33]
	v_mul_f64_e32 v[28:29], v[28:29], v[146:147]
	s_delay_alu instid0(VALU_DEP_1)
	v_fma_f64 v[28:29], v[30:31], v[144:145], v[28:29]
	global_load_b128 v[144:147], v[148:149], off offset:656
	s_wait_loadcnt 0x0
	v_mul_f64_e32 v[30:31], v[2:3], v[146:147]
	scratch_store_b128 off, v[144:147], off offset:916 ; 16-byte Folded Spill
	global_wb scope:SCOPE_SE
	s_wait_storecnt 0x0
	s_barrier_signal -1
	s_barrier_wait -1
	global_inv scope:SCOPE_SE
	v_fma_f64 v[30:31], v[0:1], v[144:145], -v[30:31]
	v_mul_f64_e32 v[0:1], v[0:1], v[146:147]
	v_add_f64_e32 v[146:147], v[22:23], v[26:27]
	s_delay_alu instid0(VALU_DEP_3) | instskip(NEXT) | instid1(VALU_DEP_3)
	v_add_f64_e32 v[148:149], v[32:33], v[30:31]
	v_fma_f64 v[34:35], v[2:3], v[144:145], v[0:1]
	v_add_f64_e32 v[0:1], v[94:95], v[38:39]
	v_add_f64_e32 v[144:145], v[48:49], v[52:53]
	s_delay_alu instid0(VALU_DEP_3) | instskip(NEXT) | instid1(VALU_DEP_3)
	v_add_f64_e32 v[154:155], v[28:29], v[34:35]
	v_add_f64_e32 v[172:173], v[220:221], v[0:1]
	;; [unrolled: 1-line block ×3, first 2 shown]
	s_delay_alu instid0(VALU_DEP_2) | instskip(NEXT) | instid1(VALU_DEP_2)
	v_add_f64_e32 v[224:225], v[16:17], v[172:173]
	v_add_f64_e32 v[180:181], v[178:179], v[0:1]
	;; [unrolled: 1-line block ×3, first 2 shown]
	s_delay_alu instid0(VALU_DEP_3) | instskip(NEXT) | instid1(VALU_DEP_3)
	v_fma_f64 v[172:173], v[172:173], s[10:11], v[224:225]
	v_add_f64_e32 v[226:227], v[18:19], v[180:181]
	s_delay_alu instid0(VALU_DEP_3) | instskip(SKIP_1) | instid1(VALU_DEP_3)
	v_add_f64_e32 v[188:189], v[186:187], v[0:1]
	v_add_f64_e32 v[0:1], v[192:193], v[190:191]
	v_fma_f64 v[180:181], v[180:181], s[10:11], v[226:227]
	s_delay_alu instid0(VALU_DEP_3) | instskip(NEXT) | instid1(VALU_DEP_3)
	v_add_f64_e32 v[12:13], v[12:13], v[188:189]
	v_add_f64_e32 v[228:229], v[194:195], v[0:1]
	;; [unrolled: 1-line block ×3, first 2 shown]
	v_add_f64_e64 v[156:157], v[156:157], -v[158:159]
	s_delay_alu instid0(VALU_DEP_3) | instskip(NEXT) | instid1(VALU_DEP_3)
	v_add_f64_e32 v[14:15], v[14:15], v[228:229]
	v_add_f64_e32 v[164:165], v[158:159], v[0:1]
	;; [unrolled: 1-line block ×3, first 2 shown]
	v_add_f64_e64 v[158:159], v[160:161], -v[162:163]
	s_delay_alu instid0(VALU_DEP_3) | instskip(NEXT) | instid1(VALU_DEP_3)
	v_add_f64_e32 v[8:9], v[8:9], v[164:165]
	v_add_f64_e32 v[166:167], v[162:163], v[0:1]
	;; [unrolled: 1-line block ×3, first 2 shown]
	s_delay_alu instid0(VALU_DEP_3) | instskip(NEXT) | instid1(VALU_DEP_3)
	v_fma_f64 v[164:165], v[164:165], s[10:11], v[8:9]
	v_add_f64_e32 v[10:11], v[10:11], v[166:167]
	s_delay_alu instid0(VALU_DEP_3) | instskip(SKIP_1) | instid1(VALU_DEP_3)
	v_add_f64_e32 v[16:17], v[148:149], v[0:1]
	v_add_f64_e32 v[0:1], v[152:153], v[150:151]
	v_fma_f64 v[166:167], v[166:167], s[10:11], v[10:11]
	s_delay_alu instid0(VALU_DEP_2) | instskip(NEXT) | instid1(VALU_DEP_4)
	v_add_f64_e32 v[18:19], v[154:155], v[0:1]
	v_add_f64_e32 v[0:1], v[4:5], v[16:17]
	v_cndmask_b32_e64 v4, 0, 0x118, s1
	s_delay_alu instid0(VALU_DEP_1)
	v_add_lshl_u32 v169, v169, v4, 4
	v_add_f64_e64 v[4:5], v[110:111], -v[118:119]
	v_add_f64_e64 v[110:111], v[176:177], -v[174:175]
	;; [unrolled: 1-line block ×3, first 2 shown]
	ds_store_b128 v169, v[224:227]
	v_add_f64_e32 v[2:3], v[6:7], v[18:19]
	v_add_f64_e64 v[6:7], v[100:101], -v[102:103]
	v_add_f64_e64 v[100:101], v[108:109], -v[96:97]
	;; [unrolled: 1-line block ×5, first 2 shown]
	v_fma_f64 v[16:17], v[16:17], s[10:11], v[0:1]
	v_add_f64_e64 v[96:97], v[106:107], -v[4:5]
	v_add_f64_e32 v[94:95], v[106:107], v[4:5]
	v_add_f64_e64 v[118:119], v[4:5], -v[104:105]
	v_add_f64_e64 v[106:107], v[104:105], -v[106:107]
	v_fma_f64 v[18:19], v[18:19], s[10:11], v[2:3]
	v_add_f64_e32 v[4:5], v[98:99], v[6:7]
	v_add_f64_e64 v[120:121], v[98:99], -v[6:7]
	v_add_f64_e64 v[122:123], v[6:7], -v[100:101]
	v_add_f64_e64 v[178:179], v[100:101], -v[98:99]
	v_mul_f64_e32 v[6:7], s[16:17], v[116:117]
	v_mul_f64_e32 v[38:39], s[24:25], v[38:39]
	;; [unrolled: 1-line block ×3, first 2 shown]
	v_add_f64_e32 v[176:177], v[94:95], v[104:105]
	v_mul_f64_e32 v[98:99], s[20:21], v[118:119]
	v_add_f64_e32 v[224:225], v[4:5], v[100:101]
	v_mul_f64_e32 v[120:121], s[22:23], v[120:121]
	v_mul_f64_e32 v[100:101], s[20:21], v[122:123]
	;; [unrolled: 1-line block ×3, first 2 shown]
	v_fma_f64 v[6:7], v[110:111], s[18:19], -v[6:7]
	v_fma_f64 v[94:95], v[118:119], s[20:21], -v[226:227]
	v_mul_f64_e32 v[118:119], s[24:25], v[174:175]
	v_fma_f64 v[98:99], v[106:107], s[30:31], -v[98:99]
	v_fma_f64 v[106:107], v[106:107], s[28:29], v[226:227]
	v_fma_f64 v[100:101], v[178:179], s[30:31], -v[100:101]
	v_fma_f64 v[4:5], v[102:103], s[18:19], -v[4:5]
	;; [unrolled: 1-line block ×3, first 2 shown]
	v_fma_f64 v[38:39], v[108:109], s[16:17], v[38:39]
	v_add_f64_e32 v[234:235], v[6:7], v[180:181]
	s_wait_alu 0xfffe
	v_fma_f64 v[96:97], v[176:177], s[14:15], v[94:95]
	v_fma_f64 v[104:105], v[110:111], s[26:27], -v[118:119]
	v_fma_f64 v[110:111], v[176:177], s[14:15], v[98:99]
	v_fma_f64 v[94:95], v[122:123], s[20:21], -v[120:121]
	v_fma_f64 v[108:109], v[116:117], s[16:17], v[118:119]
	v_fma_f64 v[118:119], v[176:177], s[14:15], v[106:107]
	v_fma_f64 v[176:177], v[188:189], s[10:11], v[12:13]
	v_fma_f64 v[122:123], v[224:225], s[14:15], v[100:101]
	v_add_f64_e32 v[230:231], v[4:5], v[172:173]
	v_add_f64_e32 v[102:103], v[102:103], v[172:173]
	v_add_f64_e32 v[38:39], v[38:39], v[172:173]
	v_add_f64_e32 v[6:7], v[96:97], v[234:235]
	v_add_f64_e32 v[104:105], v[104:105], v[180:181]
	v_add_f64_e64 v[96:97], v[234:235], -v[96:97]
	v_fma_f64 v[94:95], v[224:225], s[14:15], v[94:95]
	v_add_f64_e32 v[98:99], v[122:123], v[102:103]
	v_add_f64_e64 v[102:103], v[102:103], -v[122:123]
	v_add_f64_e64 v[100:101], v[104:105], -v[110:111]
	v_add_f64_e32 v[104:105], v[110:111], v[104:105]
	v_fma_f64 v[110:111], v[178:179], s[28:29], v[120:121]
	v_add_f64_e32 v[120:121], v[108:109], v[180:181]
	v_fma_f64 v[178:179], v[228:229], s[10:11], v[14:15]
	v_add_f64_e64 v[4:5], v[230:231], -v[94:95]
	v_add_f64_e32 v[94:95], v[94:95], v[230:231]
	v_fma_f64 v[110:111], v[224:225], s[14:15], v[110:111]
	v_add_f64_e64 v[108:109], v[120:121], -v[118:119]
	v_add_f64_e32 v[118:119], v[118:119], v[120:121]
	s_delay_alu instid0(VALU_DEP_3)
	v_add_f64_e32 v[106:107], v[110:111], v[38:39]
	v_add_f64_e64 v[116:117], v[38:39], -v[110:111]
	v_add_f64_e64 v[38:39], v[82:83], -v[88:89]
	;; [unrolled: 1-line block ×7, first 2 shown]
	ds_store_b128 v169, v[106:109] offset:640
	ds_store_b128 v169, v[98:101] offset:1280
	;; [unrolled: 1-line block ×5, first 2 shown]
	v_and_b32_e32 v4, 0xffff, v170
	scratch_store_b32 off, v169, off offset:820 ; 4-byte Folded Spill
	v_add_f64_e64 v[76:77], v[82:83], -v[38:39]
	v_add_f64_e32 v[74:75], v[82:83], v[38:39]
	v_add_f64_e64 v[38:39], v[38:39], -v[80:81]
	v_add_f64_e64 v[120:121], v[72:73], -v[84:85]
	v_mul_f64_e32 v[110:111], s[22:23], v[110:111]
	v_mul_f64_e32 v[72:73], s[16:17], v[88:89]
	v_add_f64_e32 v[172:173], v[78:79], v[84:85]
	v_add_f64_e64 v[46:47], v[84:85], -v[46:47]
	v_mul_u32_u24_e32 v4, 0x118, v4
	ds_store_b128 v169, v[116:119] offset:3840
	v_add_f64_e64 v[6:7], v[30:31], -v[32:33]
	v_add_f64_e64 v[30:31], v[154:155], -v[152:153]
	v_mul_f64_e32 v[174:175], s[22:23], v[76:77]
	v_add_f64_e32 v[122:123], v[74:75], v[80:81]
	v_mul_f64_e32 v[74:75], s[16:17], v[92:93]
	v_fma_f64 v[72:73], v[86:87], s[18:19], -v[72:73]
	s_delay_alu instid0(VALU_DEP_4) | instskip(SKIP_1) | instid1(VALU_DEP_4)
	v_fma_f64 v[76:77], v[38:39], s[20:21], -v[174:175]
	v_mul_f64_e32 v[38:39], s[20:21], v[38:39]
	v_fma_f64 v[74:75], v[90:91], s[18:19], -v[74:75]
	s_delay_alu instid0(VALU_DEP_4) | instskip(NEXT) | instid1(VALU_DEP_4)
	v_add_f64_e32 v[180:181], v[72:73], v[176:177]
	v_fma_f64 v[78:79], v[122:123], s[14:15], v[76:77]
	v_fma_f64 v[76:77], v[120:121], s[20:21], -v[110:111]
	s_delay_alu instid0(VALU_DEP_4) | instskip(NEXT) | instid1(VALU_DEP_2)
	v_add_f64_e32 v[184:185], v[74:75], v[178:179]
	v_fma_f64 v[76:77], v[172:173], s[14:15], v[76:77]
	s_delay_alu instid0(VALU_DEP_2)
	v_add_f64_e32 v[74:75], v[78:79], v[184:185]
	v_add_f64_e64 v[78:79], v[184:185], -v[78:79]
	v_add_f64_e64 v[184:185], v[80:81], -v[82:83]
	v_mul_f64_e32 v[80:81], s[20:21], v[120:121]
	v_add_f64_e64 v[72:73], v[180:181], -v[76:77]
	v_add_f64_e32 v[76:77], v[76:77], v[180:181]
	v_add_f64_e64 v[180:181], v[182:183], -v[186:187]
	v_add_f64_e64 v[182:183], v[190:191], -v[194:195]
	v_fma_f64 v[38:39], v[184:185], s[30:31], -v[38:39]
	v_fma_f64 v[80:81], v[46:47], s[30:31], -v[80:81]
	v_fma_f64 v[46:47], v[46:47], s[28:29], v[110:111]
	v_add_lshl_u32 v195, v4, v171, 4
	v_and_b32_e32 v4, 0xffff, v222
	s_delay_alu instid0(VALU_DEP_1) | instskip(NEXT) | instid1(VALU_DEP_1)
	v_mul_u32_u24_e32 v4, 0x118, v4
	v_add_lshl_u32 v4, v4, v223, 4
	v_mul_f64_e32 v[120:121], s[24:25], v[180:181]
	v_mul_f64_e32 v[180:181], s[24:25], v[182:183]
	v_fma_f64 v[38:39], v[122:123], s[14:15], v[38:39]
	v_fma_f64 v[46:47], v[172:173], s[14:15], v[46:47]
	s_delay_alu instid0(VALU_DEP_4) | instskip(NEXT) | instid1(VALU_DEP_4)
	v_fma_f64 v[82:83], v[86:87], s[26:27], -v[120:121]
	v_fma_f64 v[84:85], v[90:91], s[26:27], -v[180:181]
	v_fma_f64 v[86:87], v[172:173], s[14:15], v[80:81]
	v_fma_f64 v[88:89], v[88:89], s[16:17], v[120:121]
	s_delay_alu instid0(VALU_DEP_4) | instskip(NEXT) | instid1(VALU_DEP_4)
	v_add_f64_e32 v[90:91], v[82:83], v[176:177]
	v_add_f64_e32 v[182:183], v[84:85], v[178:179]
	s_delay_alu instid0(VALU_DEP_2) | instskip(NEXT) | instid1(VALU_DEP_2)
	v_add_f64_e32 v[80:81], v[86:87], v[90:91]
	v_add_f64_e64 v[82:83], v[182:183], -v[38:39]
	v_add_f64_e64 v[84:85], v[90:91], -v[86:87]
	v_add_f64_e32 v[86:87], v[38:39], v[182:183]
	v_fma_f64 v[38:39], v[184:185], s[28:29], v[174:175]
	v_fma_f64 v[90:91], v[92:93], s[16:17], v[180:181]
	v_add_f64_e32 v[92:93], v[88:89], v[176:177]
	s_delay_alu instid0(VALU_DEP_3) | instskip(NEXT) | instid1(VALU_DEP_3)
	v_fma_f64 v[38:39], v[122:123], s[14:15], v[38:39]
	v_add_f64_e32 v[110:111], v[90:91], v[178:179]
	s_delay_alu instid0(VALU_DEP_3)
	v_add_f64_e32 v[88:89], v[46:47], v[92:93]
	v_add_f64_e64 v[120:121], v[92:93], -v[46:47]
	v_add_f64_e64 v[46:47], v[64:65], -v[70:71]
	;; [unrolled: 1-line block ×6, first 2 shown]
	v_add_f64_e32 v[122:123], v[38:39], v[110:111]
	v_add_f64_e64 v[38:39], v[66:67], -v[68:69]
	v_add_f64_e64 v[66:67], v[162:163], -v[218:219]
	v_mul_f64_e32 v[70:71], s[22:23], v[70:71]
	v_add_f64_e64 v[160:161], v[46:47], -v[44:45]
	v_add_f64_e64 v[162:163], v[58:59], -v[56:57]
	ds_store_b128 v195, v[12:15]
	ds_store_b128 v195, v[88:91] offset:640
	ds_store_b128 v195, v[80:83] offset:1280
	;; [unrolled: 1-line block ×6, first 2 shown]
	v_add_f64_e64 v[12:13], v[48:49], -v[52:53]
	v_add_f64_e64 v[14:15], v[20:21], -v[54:55]
	;; [unrolled: 1-line block ×3, first 2 shown]
	v_add_f64_e32 v[36:37], v[44:45], v[38:39]
	v_add_f64_e64 v[68:69], v[38:39], -v[46:47]
	v_add_f64_e32 v[38:39], v[56:57], v[42:43]
	v_add_f64_e64 v[20:21], v[146:147], -v[144:145]
	v_mul_f64_e32 v[174:175], s[22:23], v[40:41]
	v_add_f64_e32 v[110:111], v[36:37], v[46:47]
	v_mul_f64_e32 v[44:45], s[20:21], v[68:69]
	v_mul_f64_e32 v[46:47], s[20:21], v[92:93]
	v_add_f64_e32 v[172:173], v[38:39], v[58:59]
	v_mul_f64_e32 v[36:37], s[16:17], v[62:63]
	v_mul_f64_e32 v[38:39], s[16:17], v[66:67]
	v_fma_f64 v[40:41], v[68:69], s[20:21], -v[174:175]
	v_mul_f64_e32 v[68:69], s[24:25], v[156:157]
	v_fma_f64 v[44:45], v[160:161], s[30:31], -v[44:45]
	v_fma_f64 v[46:47], v[162:163], s[30:31], -v[46:47]
	;; [unrolled: 1-line block ×4, first 2 shown]
	v_fma_f64 v[42:43], v[110:111], s[14:15], v[40:41]
	v_fma_f64 v[40:41], v[92:93], s[20:21], -v[70:71]
	v_mul_f64_e32 v[92:93], s[24:25], v[158:159]
	v_fma_f64 v[56:57], v[60:61], s[26:27], -v[68:69]
	v_fma_f64 v[60:61], v[110:111], s[14:15], v[44:45]
	v_fma_f64 v[62:63], v[62:63], s[16:17], v[68:69]
	v_add_f64_e32 v[176:177], v[36:37], v[164:165]
	v_add_f64_e32 v[178:179], v[38:39], v[166:167]
	v_fma_f64 v[40:41], v[172:173], s[14:15], v[40:41]
	v_fma_f64 v[58:59], v[64:65], s[26:27], -v[92:93]
	v_fma_f64 v[64:65], v[172:173], s[14:15], v[46:47]
	v_add_f64_e32 v[56:57], v[56:57], v[164:165]
	v_fma_f64 v[66:67], v[66:67], s[16:17], v[92:93]
	v_add_f64_e32 v[38:39], v[42:43], v[178:179]
	v_add_f64_e64 v[42:43], v[178:179], -v[42:43]
	v_add_f64_e64 v[36:37], v[176:177], -v[40:41]
	v_add_f64_e32 v[58:59], v[58:59], v[166:167]
	v_add_f64_e32 v[40:41], v[40:41], v[176:177]
	;; [unrolled: 1-line block ×3, first 2 shown]
	v_add_f64_e64 v[56:57], v[56:57], -v[64:65]
	v_fma_f64 v[64:65], v[162:163], s[28:29], v[70:71]
	v_add_f64_e32 v[70:71], v[62:63], v[164:165]
	v_add_f64_e32 v[66:67], v[66:67], v[166:167]
	v_add_f64_e64 v[46:47], v[58:59], -v[60:61]
	v_add_f64_e32 v[58:59], v[60:61], v[58:59]
	v_fma_f64 v[60:61], v[160:161], s[28:29], v[174:175]
	v_fma_f64 v[64:65], v[172:173], s[14:15], v[64:65]
	s_delay_alu instid0(VALU_DEP_2) | instskip(NEXT) | instid1(VALU_DEP_2)
	v_fma_f64 v[68:69], v[110:111], s[14:15], v[60:61]
	v_add_f64_e32 v[60:61], v[64:65], v[70:71]
	v_add_f64_e64 v[64:65], v[70:71], -v[64:65]
	s_delay_alu instid0(VALU_DEP_3)
	v_add_f64_e64 v[62:63], v[66:67], -v[68:69]
	v_add_f64_e32 v[66:67], v[68:69], v[66:67]
	ds_store_b128 v4, v[8:11]
	ds_store_b128 v4, v[60:63] offset:640
	ds_store_b128 v4, v[44:47] offset:1280
	;; [unrolled: 1-line block ×5, first 2 shown]
	scratch_store_b32 off, v4, off offset:824 ; 4-byte Folded Spill
	ds_store_b128 v4, v[64:67] offset:3840
	v_add_f64_e64 v[4:5], v[22:23], -v[26:27]
	v_add_f64_e64 v[8:9], v[24:25], -v[50:51]
	;; [unrolled: 1-line block ×7, first 2 shown]
	v_add_f64_e32 v[32:33], v[6:7], v[4:5]
	v_add_f64_e64 v[34:35], v[6:7], -v[4:5]
	v_add_f64_e64 v[6:7], v[12:13], -v[6:7]
	;; [unrolled: 1-line block ×4, first 2 shown]
	v_mul_f64_e32 v[22:23], s[24:25], v[22:23]
	v_add_f64_e32 v[12:13], v[32:33], v[12:13]
	v_add_f64_e32 v[32:33], v[10:11], v[8:9]
	v_add_f64_e64 v[10:11], v[14:15], -v[10:11]
	v_add_f64_e64 v[8:9], v[8:9], -v[14:15]
	v_fma_f64 v[38:39], v[20:21], s[26:27], -v[22:23]
	s_delay_alu instid0(VALU_DEP_4) | instskip(SKIP_3) | instid1(VALU_DEP_3)
	v_add_f64_e32 v[14:15], v[32:33], v[14:15]
	v_mul_f64_e32 v[32:33], s[16:17], v[24:25]
	v_fma_f64 v[24:25], v[24:25], s[16:17], v[22:23]
	v_mul_f64_e32 v[22:23], s[20:21], v[4:5]
	v_fma_f64 v[32:33], v[20:21], s[18:19], -v[32:33]
	v_mul_f64_e32 v[20:21], s[22:23], v[34:35]
	s_delay_alu instid0(VALU_DEP_3) | instskip(SKIP_1) | instid1(VALU_DEP_3)
	v_fma_f64 v[34:35], v[6:7], s[30:31], -v[22:23]
	v_mul_f64_e32 v[22:23], s[20:21], v[8:9]
	v_fma_f64 v[4:5], v[4:5], s[20:21], -v[20:21]
	v_fma_f64 v[20:21], v[6:7], s[28:29], v[20:21]
	v_mul_f64_e32 v[6:7], s[22:23], v[36:37]
	s_delay_alu instid0(VALU_DEP_1) | instskip(SKIP_4) | instid1(VALU_DEP_4)
	v_fma_f64 v[36:37], v[8:9], s[20:21], -v[6:7]
	v_fma_f64 v[8:9], v[10:11], s[28:29], v[6:7]
	v_mul_f64_e32 v[6:7], s[24:25], v[28:29]
	v_fma_f64 v[10:11], v[10:11], s[30:31], -v[22:23]
	v_mul_f64_e32 v[22:23], s[16:17], v[30:31]
	v_fma_f64 v[8:9], v[14:15], s[14:15], v[8:9]
	s_delay_alu instid0(VALU_DEP_4) | instskip(SKIP_1) | instid1(VALU_DEP_4)
	v_fma_f64 v[40:41], v[26:27], s[26:27], -v[6:7]
	v_fma_f64 v[28:29], v[30:31], s[16:17], v[6:7]
	v_fma_f64 v[30:31], v[26:27], s[18:19], -v[22:23]
	v_fma_f64 v[6:7], v[12:13], s[14:15], v[20:21]
	v_fma_f64 v[22:23], v[12:13], s[14:15], v[4:5]
	v_fma_f64 v[20:21], v[12:13], s[14:15], v[34:35]
	v_fma_f64 v[4:5], v[14:15], s[14:15], v[36:37]
	v_fma_f64 v[10:11], v[14:15], s[14:15], v[10:11]
	v_add_f64_e32 v[14:15], v[24:25], v[16:17]
	v_add_f64_e32 v[12:13], v[32:33], v[16:17]
	;; [unrolled: 1-line block ×7, first 2 shown]
	v_add_f64_e64 v[28:29], v[16:17], -v[10:11]
	v_add_f64_e32 v[30:31], v[20:21], v[24:25]
	v_add_f64_e64 v[50:51], v[26:27], -v[22:23]
	scratch_store_b128 off, v[28:31], off offset:12 ; 16-byte Folded Spill
	v_add_f64_e64 v[28:29], v[14:15], -v[8:9]
	v_add_f64_e32 v[30:31], v[6:7], v[18:19]
	scratch_store_b128 off, v[28:31], off offset:28 ; 16-byte Folded Spill
	s_and_saveexec_b32 s1, s0
	s_cbranch_execz .LBB0_19
; %bb.18:
	v_add_f64_e32 v[22:23], v[22:23], v[26:27]
	v_add_f64_e64 v[26:27], v[24:25], -v[20:21]
	v_add_f64_e64 v[20:21], v[12:13], -v[4:5]
	scratch_load_b32 v4, off, off offset:444 ; 4-byte Folded Reload
	v_add_f64_e64 v[30:31], v[18:19], -v[6:7]
	v_add_f64_e32 v[28:29], v[8:9], v[14:15]
	scratch_load_b128 v[5:8], off, off offset:12 ; 16-byte Folded Reload
	v_add_f64_e32 v[24:25], v[10:11], v[16:17]
	s_wait_loadcnt 0x1
	v_lshlrev_b32_e32 v4, 4, v4
	ds_store_b128 v4, v[48:51] offset:20480
	s_wait_loadcnt 0x0
	ds_store_b128 v4, v[5:8] offset:21120
	ds_store_b128 v4, v[0:3] offset:17920
	;; [unrolled: 1-line block ×5, first 2 shown]
	scratch_load_b128 v[0:3], off, off offset:28 ; 16-byte Folded Reload
	s_wait_loadcnt 0x0
	ds_store_b128 v4, v[0:3] offset:21760
.LBB0_19:
	s_wait_alu 0xfffe
	s_or_b32 exec_lo, exec_lo, s1
	v_dual_mov_b32 v189, v236 :: v_dual_lshlrev_b32 v0, 6, v236
	global_wb scope:SCOPE_SE
	s_wait_storecnt_dscnt 0x0
	s_barrier_signal -1
	s_barrier_wait -1
	global_inv scope:SCOPE_SE
	s_clause 0x3
	global_load_b128 v[228:231], v0, s[2:3] offset:4448
	global_load_b128 v[224:227], v0, s[2:3] offset:4464
	;; [unrolled: 1-line block ×4, first 2 shown]
	v_lshlrev_b32_e32 v28, 6, v233
	s_clause 0x1
	global_load_b128 v[248:251], v28, s[2:3] offset:4448
	global_load_b128 v[244:247], v28, s[2:3] offset:4464
	ds_load_b128 v[0:3], v168 offset:4480
	ds_load_b128 v[4:7], v168 offset:8960
	ds_load_b128 v[12:15], v168 offset:17920
	ds_load_b128 v[8:11], v168 offset:13440
	v_lshlrev_b32_e32 v30, 6, v241
	v_lshlrev_b32_e32 v62, 6, v240
	s_mov_b32 s14, 0x134454ff
	s_mov_b32 s15, 0x3fee6f0e
	;; [unrolled: 1-line block ×3, first 2 shown]
	s_wait_alu 0xfffe
	s_mov_b32 s16, s14
	s_mov_b32 s11, 0xbfe2cf23
	;; [unrolled: 1-line block ×4, first 2 shown]
	ds_load_b128 v[80:83], v168
	s_clause 0x1
	global_load_b128 v[252:255], v28, s[2:3] offset:4496
	global_load_b128 v[240:243], v62, s[2:3] offset:4496
	s_wait_loadcnt_dscnt 0x704
	v_mul_f64_e32 v[16:17], v[2:3], v[230:231]
	s_wait_loadcnt_dscnt 0x603
	v_mul_f64_e32 v[20:21], v[6:7], v[226:227]
	v_mul_f64_e32 v[22:23], v[4:5], v[226:227]
	v_mul_f64_e32 v[18:19], v[0:1], v[230:231]
	s_delay_alu instid0(VALU_DEP_4) | instskip(NEXT) | instid1(VALU_DEP_4)
	v_fma_f64 v[72:73], v[0:1], v[228:229], -v[16:17]
	v_fma_f64 v[74:75], v[4:5], v[224:225], -v[20:21]
	s_delay_alu instid0(VALU_DEP_4)
	v_fma_f64 v[68:69], v[6:7], v[224:225], v[22:23]
	s_wait_loadcnt_dscnt 0x402
	v_mul_f64_e32 v[4:5], v[14:15], v[218:219]
	v_mul_f64_e32 v[6:7], v[12:13], v[218:219]
	v_fma_f64 v[64:65], v[2:3], v[228:229], v[18:19]
	ds_load_b128 v[0:3], v168 offset:5376
	global_load_b128 v[16:19], v30, s[2:3] offset:4448
	v_add_f64_e64 v[173:174], v[74:75], -v[72:73]
	v_fma_f64 v[78:79], v[12:13], v[216:217], -v[4:5]
	v_fma_f64 v[76:77], v[14:15], v[216:217], v[6:7]
	global_load_b128 v[12:15], v30, s[2:3] offset:4464
	ds_load_b128 v[4:7], v168 offset:9856
	s_wait_dscnt 0x3
	v_mul_f64_e32 v[24:25], v[10:11], v[222:223]
	v_mul_f64_e32 v[26:27], v[8:9], v[222:223]
	v_add_f64_e64 v[169:170], v[72:73], -v[78:79]
	v_add_f64_e64 v[116:117], v[64:65], -v[76:77]
	s_delay_alu instid0(VALU_DEP_4) | instskip(NEXT) | instid1(VALU_DEP_4)
	v_fma_f64 v[70:71], v[8:9], v[220:221], -v[24:25]
	v_fma_f64 v[66:67], v[10:11], v[220:221], v[26:27]
	s_wait_loadcnt_dscnt 0x501
	v_mul_f64_e32 v[8:9], v[2:3], v[250:251]
	v_mul_f64_e32 v[10:11], v[0:1], v[250:251]
	s_delay_alu instid0(VALU_DEP_4) | instskip(NEXT) | instid1(VALU_DEP_4)
	v_add_f64_e64 v[171:172], v[74:75], -v[70:71]
	v_add_f64_e64 v[118:119], v[68:69], -v[66:67]
	s_delay_alu instid0(VALU_DEP_4) | instskip(NEXT) | instid1(VALU_DEP_4)
	v_fma_f64 v[38:39], v[0:1], v[248:249], -v[8:9]
	v_fma_f64 v[36:37], v[2:3], v[248:249], v[10:11]
	s_wait_loadcnt_dscnt 0x400
	v_mul_f64_e32 v[0:1], v[6:7], v[246:247]
	v_mul_f64_e32 v[2:3], v[4:5], v[246:247]
	v_lshlrev_b32_e32 v10, 6, v232
	s_clause 0x3
	global_load_b128 v[24:27], v10, s[2:3] offset:4448
	global_load_b128 v[20:23], v10, s[2:3] offset:4464
	;; [unrolled: 1-line block ×4, first 2 shown]
	v_fma_f64 v[86:87], v[4:5], v[244:245], -v[0:1]
	v_fma_f64 v[40:41], v[6:7], v[244:245], v[2:3]
	global_load_b128 v[0:3], v28, s[2:3] offset:4480
	ds_load_b128 v[4:7], v168 offset:14336
	s_wait_loadcnt_dscnt 0x0
	v_mul_f64_e32 v[8:9], v[6:7], v[2:3]
	s_delay_alu instid0(VALU_DEP_1) | instskip(SKIP_1) | instid1(VALU_DEP_2)
	v_fma_f64 v[84:85], v[4:5], v[0:1], -v[8:9]
	v_mul_f64_e32 v[4:5], v[4:5], v[2:3]
	v_add_f64_e64 v[175:176], v[86:87], -v[84:85]
	s_delay_alu instid0(VALU_DEP_2) | instskip(SKIP_3) | instid1(VALU_DEP_1)
	v_fma_f64 v[42:43], v[6:7], v[0:1], v[4:5]
	ds_load_b128 v[4:7], v168 offset:18816
	s_wait_dscnt 0x0
	v_mul_f64_e32 v[8:9], v[6:7], v[254:255]
	v_fma_f64 v[88:89], v[4:5], v[252:253], -v[8:9]
	v_mul_f64_e32 v[4:5], v[4:5], v[254:255]
	s_delay_alu instid0(VALU_DEP_1) | instskip(SKIP_3) | instid1(VALU_DEP_1)
	v_fma_f64 v[90:91], v[6:7], v[252:253], v[4:5]
	ds_load_b128 v[4:7], v168 offset:6272
	s_wait_dscnt 0x0
	v_mul_f64_e32 v[8:9], v[6:7], v[26:27]
	v_fma_f64 v[98:99], v[4:5], v[24:25], -v[8:9]
	v_mul_f64_e32 v[4:5], v[4:5], v[26:27]
	s_delay_alu instid0(VALU_DEP_1) | instskip(SKIP_3) | instid1(VALU_DEP_1)
	;; [unrolled: 7-line block ×3, first 2 shown]
	v_fma_f64 v[100:101], v[6:7], v[20:21], v[4:5]
	ds_load_b128 v[4:7], v168 offset:15232
	s_wait_dscnt 0x0
	v_mul_f64_e32 v[8:9], v[6:7], v[238:239]
	v_fma_f64 v[104:105], v[4:5], v[236:237], -v[8:9]
	v_mul_f64_e32 v[4:5], v[4:5], v[238:239]
	s_delay_alu instid0(VALU_DEP_2) | instskip(NEXT) | instid1(VALU_DEP_2)
	v_add_f64_e64 v[179:180], v[106:107], -v[104:105]
	v_fma_f64 v[102:103], v[6:7], v[236:237], v[4:5]
	ds_load_b128 v[4:7], v168 offset:19712
	s_wait_dscnt 0x0
	v_mul_f64_e32 v[8:9], v[6:7], v[234:235]
	s_delay_alu instid0(VALU_DEP_1) | instskip(SKIP_1) | instid1(VALU_DEP_2)
	v_fma_f64 v[108:109], v[4:5], v[232:233], -v[8:9]
	v_mul_f64_e32 v[4:5], v[4:5], v[234:235]
	v_add_f64_e64 v[177:178], v[98:99], -v[108:109]
	s_delay_alu instid0(VALU_DEP_2) | instskip(SKIP_3) | instid1(VALU_DEP_1)
	v_fma_f64 v[110:111], v[6:7], v[232:233], v[4:5]
	ds_load_b128 v[4:7], v168 offset:7168
	s_wait_dscnt 0x0
	v_mul_f64_e32 v[8:9], v[6:7], v[18:19]
	v_fma_f64 v[122:123], v[4:5], v[16:17], -v[8:9]
	v_mul_f64_e32 v[4:5], v[4:5], v[18:19]
	s_delay_alu instid0(VALU_DEP_1) | instskip(SKIP_3) | instid1(VALU_DEP_1)
	v_fma_f64 v[120:121], v[6:7], v[16:17], v[4:5]
	ds_load_b128 v[4:7], v168 offset:11648
	s_wait_dscnt 0x0
	v_mul_f64_e32 v[8:9], v[6:7], v[14:15]
	v_fma_f64 v[150:151], v[4:5], v[12:13], -v[8:9]
	global_load_b128 v[8:11], v30, s[2:3] offset:4480
	v_mul_f64_e32 v[4:5], v[4:5], v[14:15]
	s_delay_alu instid0(VALU_DEP_1) | instskip(SKIP_3) | instid1(VALU_DEP_1)
	v_fma_f64 v[144:145], v[6:7], v[12:13], v[4:5]
	ds_load_b128 v[4:7], v168 offset:16128
	s_wait_loadcnt_dscnt 0x0
	v_mul_f64_e32 v[28:29], v[6:7], v[10:11]
	v_fma_f64 v[148:149], v[4:5], v[8:9], -v[28:29]
	v_mul_f64_e32 v[4:5], v[4:5], v[10:11]
	s_delay_alu instid0(VALU_DEP_2) | instskip(NEXT) | instid1(VALU_DEP_2)
	v_add_f64_e64 v[183:184], v[150:151], -v[148:149]
	v_fma_f64 v[146:147], v[6:7], v[8:9], v[4:5]
	global_load_b128 v[4:7], v30, s[2:3] offset:4496
	ds_load_b128 v[28:31], v168 offset:20608
	s_wait_loadcnt_dscnt 0x0
	v_mul_f64_e32 v[32:33], v[30:31], v[6:7]
	s_delay_alu instid0(VALU_DEP_1) | instskip(SKIP_3) | instid1(VALU_DEP_2)
	v_fma_f64 v[164:165], v[28:29], v[4:5], -v[32:33]
	global_load_b128 v[32:35], v62, s[2:3] offset:4448
	v_mul_f64_e32 v[28:29], v[28:29], v[6:7]
	v_add_f64_e64 v[181:182], v[122:123], -v[164:165]
	v_fma_f64 v[166:167], v[30:31], v[4:5], v[28:29]
	ds_load_b128 v[28:31], v168 offset:8064
	s_wait_loadcnt_dscnt 0x0
	v_mul_f64_e32 v[44:45], v[30:31], v[34:35]
	s_delay_alu instid0(VALU_DEP_1) | instskip(SKIP_2) | instid1(VALU_DEP_1)
	v_fma_f64 v[52:53], v[28:29], v[32:33], -v[44:45]
	global_load_b128 v[44:47], v62, s[2:3] offset:4464
	v_mul_f64_e32 v[28:29], v[28:29], v[34:35]
	v_fma_f64 v[54:55], v[30:31], v[32:33], v[28:29]
	ds_load_b128 v[28:31], v168 offset:12544
	s_wait_loadcnt_dscnt 0x0
	v_mul_f64_e32 v[56:57], v[30:31], v[46:47]
	s_delay_alu instid0(VALU_DEP_1)
	v_fma_f64 v[152:153], v[28:29], v[44:45], -v[56:57]
	v_mul_f64_e32 v[28:29], v[28:29], v[46:47]
	ds_load_b128 v[56:59], v168 offset:17024
	v_fma_f64 v[154:155], v[30:31], v[44:45], v[28:29]
	global_load_b128 v[28:31], v62, s[2:3] offset:4480
	s_mov_b32 s2, 0x4755a5e
	s_mov_b32 s3, 0x3fe2cf23
	s_wait_alu 0xfffe
	s_mov_b32 s10, s2
	s_wait_loadcnt_dscnt 0x0
	v_mul_f64_e32 v[60:61], v[58:59], v[30:31]
	s_delay_alu instid0(VALU_DEP_1) | instskip(SKIP_1) | instid1(VALU_DEP_2)
	v_fma_f64 v[158:159], v[56:57], v[28:29], -v[60:61]
	v_mul_f64_e32 v[56:57], v[56:57], v[30:31]
	v_add_f64_e64 v[185:186], v[152:153], -v[158:159]
	s_delay_alu instid0(VALU_DEP_2) | instskip(SKIP_3) | instid1(VALU_DEP_1)
	v_fma_f64 v[156:157], v[58:59], v[28:29], v[56:57]
	ds_load_b128 v[56:59], v168 offset:21504
	s_wait_dscnt 0x0
	v_mul_f64_e32 v[60:61], v[58:59], v[242:243]
	v_fma_f64 v[160:161], v[56:57], v[240:241], -v[60:61]
	v_mul_f64_e32 v[56:57], v[56:57], v[242:243]
	s_delay_alu instid0(VALU_DEP_2) | instskip(NEXT) | instid1(VALU_DEP_2)
	v_add_f64_e64 v[187:188], v[52:53], -v[160:161]
	v_fma_f64 v[162:163], v[58:59], v[240:241], v[56:57]
	v_add_f64_e64 v[56:57], v[72:73], -v[74:75]
	v_add_f64_e64 v[58:59], v[78:79], -v[70:71]
	s_delay_alu instid0(VALU_DEP_1) | instskip(SKIP_2) | instid1(VALU_DEP_1)
	v_add_f64_e32 v[60:61], v[56:57], v[58:59]
	v_add_f64_e64 v[56:57], v[64:65], -v[68:69]
	v_add_f64_e64 v[58:59], v[76:77], -v[66:67]
	v_add_f64_e32 v[62:63], v[56:57], v[58:59]
	v_add_f64_e32 v[56:57], v[74:75], v[70:71]
	s_delay_alu instid0(VALU_DEP_1) | instskip(SKIP_1) | instid1(VALU_DEP_1)
	v_fma_f64 v[92:93], v[56:57], -0.5, v[80:81]
	v_add_f64_e32 v[56:57], v[68:69], v[66:67]
	v_fma_f64 v[94:95], v[56:57], -0.5, v[82:83]
	s_delay_alu instid0(VALU_DEP_3) | instskip(SKIP_1) | instid1(VALU_DEP_3)
	v_fma_f64 v[56:57], v[116:117], s[14:15], v[92:93]
	v_fma_f64 v[92:93], v[116:117], s[16:17], v[92:93]
	;; [unrolled: 1-line block ×4, first 2 shown]
	s_delay_alu instid0(VALU_DEP_4) | instskip(SKIP_1) | instid1(VALU_DEP_4)
	v_fma_f64 v[56:57], v[118:119], s[2:3], v[56:57]
	s_wait_alu 0xfffe
	v_fma_f64 v[92:93], v[118:119], s[10:11], v[92:93]
	s_delay_alu instid0(VALU_DEP_4) | instskip(NEXT) | instid1(VALU_DEP_4)
	v_fma_f64 v[58:59], v[171:172], s[10:11], v[58:59]
	v_fma_f64 v[94:95], v[171:172], s[2:3], v[94:95]
	s_delay_alu instid0(VALU_DEP_4) | instskip(NEXT) | instid1(VALU_DEP_4)
	v_fma_f64 v[56:57], v[60:61], s[18:19], v[56:57]
	v_fma_f64 v[60:61], v[60:61], s[18:19], v[92:93]
	v_add_f64_e32 v[92:93], v[72:73], v[78:79]
	v_fma_f64 v[58:59], v[62:63], s[18:19], v[58:59]
	v_fma_f64 v[62:63], v[62:63], s[18:19], v[94:95]
	v_add_f64_e32 v[94:95], v[64:65], v[76:77]
	s_delay_alu instid0(VALU_DEP_4) | instskip(SKIP_1) | instid1(VALU_DEP_3)
	v_fma_f64 v[92:93], v[92:93], -0.5, v[80:81]
	v_add_f64_e32 v[80:81], v[80:81], v[72:73]
	v_fma_f64 v[94:95], v[94:95], -0.5, v[82:83]
	v_add_f64_e32 v[82:83], v[82:83], v[64:65]
	v_add_f64_e64 v[64:65], v[68:69], -v[64:65]
	s_delay_alu instid0(VALU_DEP_4) | instskip(NEXT) | instid1(VALU_DEP_4)
	v_add_f64_e32 v[72:73], v[80:81], v[74:75]
	v_fma_f64 v[80:81], v[171:172], s[16:17], v[94:95]
	s_delay_alu instid0(VALU_DEP_4) | instskip(NEXT) | instid1(VALU_DEP_3)
	v_add_f64_e32 v[74:75], v[82:83], v[68:69]
	v_add_f64_e32 v[68:69], v[72:73], v[70:71]
	v_add_f64_e64 v[70:71], v[70:71], -v[78:79]
	s_delay_alu instid0(VALU_DEP_3) | instskip(SKIP_1) | instid1(VALU_DEP_4)
	v_add_f64_e32 v[74:75], v[74:75], v[66:67]
	v_add_f64_e64 v[66:67], v[66:67], -v[76:77]
	v_add_f64_e32 v[72:73], v[68:69], v[78:79]
	v_fma_f64 v[68:69], v[118:119], s[16:17], v[92:93]
	v_fma_f64 v[78:79], v[171:172], s[14:15], v[94:95]
	v_add_f64_e32 v[70:71], v[173:174], v[70:71]
	v_add_f64_e64 v[173:174], v[38:39], -v[88:89]
	v_add_f64_e64 v[171:172], v[40:41], -v[42:43]
	v_add_f64_e32 v[74:75], v[74:75], v[76:77]
	v_fma_f64 v[76:77], v[118:119], s[14:15], v[92:93]
	v_add_f64_e32 v[82:83], v[64:65], v[66:67]
	v_fma_f64 v[64:65], v[116:117], s[2:3], v[68:69]
	v_fma_f64 v[66:67], v[169:170], s[10:11], v[78:79]
	v_add_f64_e64 v[78:79], v[88:89], -v[84:85]
	ds_load_b128 v[92:95], v168 offset:896
	v_fma_f64 v[68:69], v[116:117], s[10:11], v[76:77]
	v_fma_f64 v[76:77], v[169:170], s[2:3], v[80:81]
	;; [unrolled: 1-line block ×4, first 2 shown]
	v_add_f64_e64 v[169:170], v[36:37], -v[90:91]
	v_fma_f64 v[68:69], v[70:71], s[18:19], v[68:69]
	v_fma_f64 v[70:71], v[82:83], s[18:19], v[76:77]
	v_add_f64_e64 v[76:77], v[38:39], -v[86:87]
	s_delay_alu instid0(VALU_DEP_1) | instskip(SKIP_2) | instid1(VALU_DEP_1)
	v_add_f64_e32 v[80:81], v[76:77], v[78:79]
	v_add_f64_e64 v[76:77], v[36:37], -v[40:41]
	v_add_f64_e64 v[78:79], v[90:91], -v[42:43]
	v_add_f64_e32 v[82:83], v[76:77], v[78:79]
	v_add_f64_e32 v[76:77], v[86:87], v[84:85]
	s_wait_dscnt 0x0
	s_delay_alu instid0(VALU_DEP_1) | instskip(SKIP_1) | instid1(VALU_DEP_1)
	v_fma_f64 v[116:117], v[76:77], -0.5, v[92:93]
	v_add_f64_e32 v[76:77], v[40:41], v[42:43]
	v_fma_f64 v[118:119], v[76:77], -0.5, v[94:95]
	s_delay_alu instid0(VALU_DEP_3) | instskip(SKIP_1) | instid1(VALU_DEP_3)
	v_fma_f64 v[76:77], v[169:170], s[14:15], v[116:117]
	v_fma_f64 v[116:117], v[169:170], s[16:17], v[116:117]
	;; [unrolled: 1-line block ×4, first 2 shown]
	s_delay_alu instid0(VALU_DEP_4) | instskip(NEXT) | instid1(VALU_DEP_4)
	v_fma_f64 v[76:77], v[171:172], s[2:3], v[76:77]
	v_fma_f64 v[116:117], v[171:172], s[10:11], v[116:117]
	s_delay_alu instid0(VALU_DEP_4) | instskip(NEXT) | instid1(VALU_DEP_4)
	v_fma_f64 v[78:79], v[175:176], s[10:11], v[78:79]
	v_fma_f64 v[118:119], v[175:176], s[2:3], v[118:119]
	;; [unrolled: 3-line block ×3, first 2 shown]
	v_add_f64_e32 v[116:117], v[38:39], v[88:89]
	v_fma_f64 v[78:79], v[82:83], s[18:19], v[78:79]
	v_fma_f64 v[82:83], v[82:83], s[18:19], v[118:119]
	v_add_f64_e32 v[118:119], v[36:37], v[90:91]
	s_delay_alu instid0(VALU_DEP_4) | instskip(SKIP_2) | instid1(VALU_DEP_4)
	v_fma_f64 v[116:117], v[116:117], -0.5, v[92:93]
	v_add_f64_e32 v[92:93], v[92:93], v[38:39]
	v_add_f64_e64 v[38:39], v[86:87], -v[38:39]
	v_fma_f64 v[118:119], v[118:119], -0.5, v[94:95]
	v_add_f64_e32 v[94:95], v[94:95], v[36:37]
	v_add_f64_e64 v[36:37], v[40:41], -v[36:37]
	v_add_f64_e32 v[86:87], v[92:93], v[86:87]
	s_delay_alu instid0(VALU_DEP_3) | instskip(NEXT) | instid1(VALU_DEP_2)
	v_add_f64_e32 v[92:93], v[94:95], v[40:41]
	v_add_f64_e32 v[40:41], v[86:87], v[84:85]
	v_add_f64_e64 v[84:85], v[84:85], -v[88:89]
	s_delay_alu instid0(VALU_DEP_3) | instskip(NEXT) | instid1(VALU_DEP_3)
	v_add_f64_e32 v[86:87], v[92:93], v[42:43]
	v_add_f64_e32 v[92:93], v[40:41], v[88:89]
	v_add_f64_e64 v[40:41], v[42:43], -v[90:91]
	v_fma_f64 v[42:43], v[171:172], s[16:17], v[116:117]
	v_fma_f64 v[88:89], v[175:176], s[14:15], v[118:119]
	v_add_f64_e32 v[38:39], v[38:39], v[84:85]
	v_add_f64_e32 v[94:95], v[86:87], v[90:91]
	v_fma_f64 v[86:87], v[171:172], s[14:15], v[116:117]
	v_fma_f64 v[90:91], v[175:176], s[16:17], v[118:119]
	v_add_f64_e32 v[36:37], v[36:37], v[40:41]
	v_fma_f64 v[40:41], v[169:170], s[2:3], v[42:43]
	ds_load_b128 v[116:119], v168 offset:1792
	v_add_f64_e64 v[175:176], v[100:101], -v[102:103]
	v_fma_f64 v[42:43], v[169:170], s[10:11], v[86:87]
	v_fma_f64 v[86:87], v[173:174], s[10:11], v[88:89]
	v_fma_f64 v[90:91], v[173:174], s[2:3], v[90:91]
	v_fma_f64 v[84:85], v[38:39], s[18:19], v[40:41]
	v_add_f64_e64 v[173:174], v[96:97], -v[110:111]
	v_fma_f64 v[88:89], v[38:39], s[18:19], v[42:43]
	v_fma_f64 v[86:87], v[36:37], s[18:19], v[86:87]
	;; [unrolled: 1-line block ×3, first 2 shown]
	v_add_f64_e64 v[36:37], v[98:99], -v[106:107]
	v_add_f64_e64 v[38:39], v[108:109], -v[104:105]
	s_delay_alu instid0(VALU_DEP_1) | instskip(SKIP_2) | instid1(VALU_DEP_1)
	v_add_f64_e32 v[40:41], v[36:37], v[38:39]
	v_add_f64_e64 v[36:37], v[96:97], -v[100:101]
	v_add_f64_e64 v[38:39], v[110:111], -v[102:103]
	v_add_f64_e32 v[42:43], v[36:37], v[38:39]
	v_add_f64_e32 v[36:37], v[106:107], v[104:105]
	s_wait_dscnt 0x0
	s_delay_alu instid0(VALU_DEP_1) | instskip(SKIP_1) | instid1(VALU_DEP_1)
	v_fma_f64 v[169:170], v[36:37], -0.5, v[116:117]
	v_add_f64_e32 v[36:37], v[100:101], v[102:103]
	v_fma_f64 v[171:172], v[36:37], -0.5, v[118:119]
	s_delay_alu instid0(VALU_DEP_3) | instskip(SKIP_1) | instid1(VALU_DEP_3)
	v_fma_f64 v[36:37], v[173:174], s[14:15], v[169:170]
	v_fma_f64 v[169:170], v[173:174], s[16:17], v[169:170]
	;; [unrolled: 1-line block ×4, first 2 shown]
	s_delay_alu instid0(VALU_DEP_4) | instskip(NEXT) | instid1(VALU_DEP_4)
	v_fma_f64 v[36:37], v[175:176], s[2:3], v[36:37]
	v_fma_f64 v[169:170], v[175:176], s[10:11], v[169:170]
	s_delay_alu instid0(VALU_DEP_4) | instskip(NEXT) | instid1(VALU_DEP_4)
	v_fma_f64 v[38:39], v[179:180], s[10:11], v[38:39]
	v_fma_f64 v[171:172], v[179:180], s[2:3], v[171:172]
	;; [unrolled: 3-line block ×3, first 2 shown]
	v_add_f64_e32 v[169:170], v[98:99], v[108:109]
	v_fma_f64 v[38:39], v[42:43], s[18:19], v[38:39]
	v_fma_f64 v[42:43], v[42:43], s[18:19], v[171:172]
	v_add_f64_e32 v[171:172], v[96:97], v[110:111]
	s_delay_alu instid0(VALU_DEP_4) | instskip(SKIP_2) | instid1(VALU_DEP_4)
	v_fma_f64 v[169:170], v[169:170], -0.5, v[116:117]
	v_add_f64_e32 v[116:117], v[116:117], v[98:99]
	v_add_f64_e64 v[98:99], v[106:107], -v[98:99]
	v_fma_f64 v[171:172], v[171:172], -0.5, v[118:119]
	v_add_f64_e32 v[118:119], v[118:119], v[96:97]
	v_add_f64_e64 v[96:97], v[100:101], -v[96:97]
	v_add_f64_e32 v[106:107], v[116:117], v[106:107]
	s_delay_alu instid0(VALU_DEP_3) | instskip(SKIP_1) | instid1(VALU_DEP_3)
	v_add_f64_e32 v[116:117], v[118:119], v[100:101]
	v_fma_f64 v[118:119], v[179:180], s[16:17], v[171:172]
	v_add_f64_e32 v[100:101], v[106:107], v[104:105]
	s_delay_alu instid0(VALU_DEP_3) | instskip(SKIP_1) | instid1(VALU_DEP_3)
	v_add_f64_e32 v[106:107], v[116:117], v[102:103]
	v_add_f64_e64 v[116:117], v[104:105], -v[108:109]
	v_add_f64_e32 v[104:105], v[100:101], v[108:109]
	v_add_f64_e64 v[100:101], v[102:103], -v[110:111]
	v_fma_f64 v[102:103], v[175:176], s[16:17], v[169:170]
	v_fma_f64 v[108:109], v[175:176], s[14:15], v[169:170]
	v_add_f64_e32 v[106:107], v[106:107], v[110:111]
	v_fma_f64 v[110:111], v[179:180], s[14:15], v[171:172]
	v_add_f64_e32 v[116:117], v[98:99], v[116:117]
	v_add_f64_e32 v[169:170], v[96:97], v[100:101]
	v_fma_f64 v[96:97], v[173:174], s[2:3], v[102:103]
	v_fma_f64 v[100:101], v[173:174], s[10:11], v[108:109]
	v_add_f64_e64 v[108:109], v[122:123], -v[150:151]
	v_fma_f64 v[102:103], v[177:178], s[2:3], v[118:119]
	v_add_f64_e64 v[179:180], v[144:145], -v[146:147]
	;; [unrolled: 2-line block ×3, first 2 shown]
	v_add_f64_e64 v[177:178], v[120:121], -v[166:167]
	v_fma_f64 v[96:97], v[116:117], s[18:19], v[96:97]
	v_fma_f64 v[100:101], v[116:117], s[18:19], v[100:101]
	;; [unrolled: 1-line block ×4, first 2 shown]
	v_add_f64_e32 v[116:117], v[108:109], v[110:111]
	v_add_f64_e64 v[108:109], v[120:121], -v[144:145]
	v_add_f64_e64 v[110:111], v[166:167], -v[146:147]
	ds_load_b128 v[169:172], v168 offset:2688
	v_add_f64_e32 v[118:119], v[108:109], v[110:111]
	v_add_f64_e32 v[108:109], v[150:151], v[148:149]
	s_wait_dscnt 0x0
	s_delay_alu instid0(VALU_DEP_1) | instskip(SKIP_1) | instid1(VALU_DEP_1)
	v_fma_f64 v[173:174], v[108:109], -0.5, v[169:170]
	v_add_f64_e32 v[108:109], v[144:145], v[146:147]
	v_fma_f64 v[175:176], v[108:109], -0.5, v[171:172]
	s_delay_alu instid0(VALU_DEP_3) | instskip(SKIP_1) | instid1(VALU_DEP_3)
	v_fma_f64 v[108:109], v[177:178], s[14:15], v[173:174]
	v_fma_f64 v[173:174], v[177:178], s[16:17], v[173:174]
	;; [unrolled: 1-line block ×4, first 2 shown]
	s_delay_alu instid0(VALU_DEP_4) | instskip(NEXT) | instid1(VALU_DEP_4)
	v_fma_f64 v[108:109], v[179:180], s[2:3], v[108:109]
	v_fma_f64 v[173:174], v[179:180], s[10:11], v[173:174]
	s_delay_alu instid0(VALU_DEP_4) | instskip(NEXT) | instid1(VALU_DEP_4)
	v_fma_f64 v[110:111], v[183:184], s[10:11], v[110:111]
	v_fma_f64 v[175:176], v[183:184], s[2:3], v[175:176]
	s_delay_alu instid0(VALU_DEP_4) | instskip(NEXT) | instid1(VALU_DEP_4)
	v_fma_f64 v[108:109], v[116:117], s[18:19], v[108:109]
	v_fma_f64 v[116:117], v[116:117], s[18:19], v[173:174]
	v_add_f64_e32 v[173:174], v[122:123], v[164:165]
	v_fma_f64 v[110:111], v[118:119], s[18:19], v[110:111]
	v_fma_f64 v[118:119], v[118:119], s[18:19], v[175:176]
	v_add_f64_e32 v[175:176], v[120:121], v[166:167]
	s_delay_alu instid0(VALU_DEP_4) | instskip(SKIP_2) | instid1(VALU_DEP_4)
	v_fma_f64 v[173:174], v[173:174], -0.5, v[169:170]
	v_add_f64_e32 v[169:170], v[169:170], v[122:123]
	v_add_f64_e64 v[122:123], v[150:151], -v[122:123]
	v_fma_f64 v[175:176], v[175:176], -0.5, v[171:172]
	v_add_f64_e32 v[171:172], v[171:172], v[120:121]
	v_add_f64_e64 v[120:121], v[144:145], -v[120:121]
	v_add_f64_e32 v[150:151], v[169:170], v[150:151]
	s_delay_alu instid0(VALU_DEP_3) | instskip(SKIP_1) | instid1(VALU_DEP_3)
	v_add_f64_e32 v[169:170], v[171:172], v[144:145]
	v_fma_f64 v[171:172], v[183:184], s[16:17], v[175:176]
	v_add_f64_e32 v[144:145], v[150:151], v[148:149]
	s_delay_alu instid0(VALU_DEP_3) | instskip(SKIP_1) | instid1(VALU_DEP_3)
	v_add_f64_e32 v[150:151], v[169:170], v[146:147]
	v_add_f64_e64 v[169:170], v[148:149], -v[164:165]
	v_add_f64_e32 v[148:149], v[144:145], v[164:165]
	v_add_f64_e64 v[144:145], v[146:147], -v[166:167]
	v_fma_f64 v[146:147], v[179:180], s[16:17], v[173:174]
	v_fma_f64 v[164:165], v[179:180], s[14:15], v[173:174]
	v_add_f64_e32 v[150:151], v[150:151], v[166:167]
	v_fma_f64 v[166:167], v[183:184], s[14:15], v[175:176]
	v_add_f64_e32 v[169:170], v[122:123], v[169:170]
	v_add_f64_e32 v[173:174], v[120:121], v[144:145]
	v_fma_f64 v[120:121], v[177:178], s[2:3], v[146:147]
	v_fma_f64 v[144:145], v[177:178], s[10:11], v[164:165]
	;; [unrolled: 1-line block ×3, first 2 shown]
	v_add_f64_e64 v[164:165], v[152:153], -v[52:53]
	v_add_f64_e64 v[183:184], v[54:55], -v[162:163]
	v_fma_f64 v[122:123], v[181:182], s[10:11], v[166:167]
	v_add_f64_e64 v[166:167], v[158:159], -v[160:161]
	v_add_f64_e64 v[181:182], v[154:155], -v[156:157]
	v_fma_f64 v[120:121], v[169:170], s[18:19], v[120:121]
	v_fma_f64 v[144:145], v[169:170], s[18:19], v[144:145]
	;; [unrolled: 1-line block ×3, first 2 shown]
	v_add_f64_e32 v[169:170], v[52:53], v[160:161]
	v_fma_f64 v[122:123], v[173:174], s[18:19], v[122:123]
	v_add_f64_e32 v[173:174], v[164:165], v[166:167]
	v_add_f64_e64 v[164:165], v[154:155], -v[54:55]
	v_add_f64_e64 v[166:167], v[156:157], -v[162:163]
	s_delay_alu instid0(VALU_DEP_1) | instskip(SKIP_4) | instid1(VALU_DEP_1)
	v_add_f64_e32 v[175:176], v[164:165], v[166:167]
	ds_load_b128 v[164:167], v168 offset:3584
	s_wait_dscnt 0x0
	v_fma_f64 v[177:178], v[169:170], -0.5, v[164:165]
	v_add_f64_e32 v[169:170], v[54:55], v[162:163]
	v_fma_f64 v[179:180], v[169:170], -0.5, v[166:167]
	s_delay_alu instid0(VALU_DEP_3) | instskip(SKIP_1) | instid1(VALU_DEP_3)
	v_fma_f64 v[169:170], v[181:182], s[16:17], v[177:178]
	v_fma_f64 v[177:178], v[181:182], s[14:15], v[177:178]
	;; [unrolled: 1-line block ×4, first 2 shown]
	s_delay_alu instid0(VALU_DEP_4) | instskip(NEXT) | instid1(VALU_DEP_4)
	v_fma_f64 v[169:170], v[183:184], s[2:3], v[169:170]
	v_fma_f64 v[177:178], v[183:184], s[10:11], v[177:178]
	s_delay_alu instid0(VALU_DEP_4) | instskip(NEXT) | instid1(VALU_DEP_4)
	v_fma_f64 v[171:172], v[187:188], s[10:11], v[171:172]
	v_fma_f64 v[179:180], v[187:188], s[2:3], v[179:180]
	;; [unrolled: 3-line block ×3, first 2 shown]
	v_add_f64_e32 v[177:178], v[152:153], v[158:159]
	v_fma_f64 v[171:172], v[175:176], s[18:19], v[171:172]
	v_fma_f64 v[175:176], v[175:176], s[18:19], v[179:180]
	v_add_f64_e32 v[179:180], v[154:155], v[156:157]
	s_delay_alu instid0(VALU_DEP_4) | instskip(SKIP_2) | instid1(VALU_DEP_4)
	v_fma_f64 v[177:178], v[177:178], -0.5, v[164:165]
	v_add_f64_e32 v[164:165], v[164:165], v[52:53]
	v_add_f64_e64 v[52:53], v[52:53], -v[152:153]
	v_fma_f64 v[179:180], v[179:180], -0.5, v[166:167]
	v_add_f64_e32 v[166:167], v[166:167], v[54:55]
	v_add_f64_e64 v[54:55], v[54:55], -v[154:155]
	v_add_f64_e32 v[152:153], v[164:165], v[152:153]
	s_delay_alu instid0(VALU_DEP_3) | instskip(SKIP_1) | instid1(VALU_DEP_3)
	v_add_f64_e32 v[164:165], v[166:167], v[154:155]
	v_fma_f64 v[166:167], v[187:188], s[14:15], v[179:180]
	v_add_f64_e32 v[152:153], v[152:153], v[158:159]
	v_add_f64_e64 v[158:159], v[160:161], -v[158:159]
	s_delay_alu instid0(VALU_DEP_4) | instskip(SKIP_1) | instid1(VALU_DEP_4)
	v_add_f64_e32 v[154:155], v[164:165], v[156:157]
	v_add_f64_e64 v[156:157], v[162:163], -v[156:157]
	v_add_f64_e32 v[152:153], v[152:153], v[160:161]
	v_fma_f64 v[160:161], v[183:184], s[14:15], v[177:178]
	v_fma_f64 v[164:165], v[187:188], s[16:17], v[179:180]
	v_add_f64_e32 v[52:53], v[52:53], v[158:159]
	v_add_f64_e32 v[154:155], v[154:155], v[162:163]
	v_fma_f64 v[162:163], v[183:184], s[16:17], v[177:178]
	v_add_f64_e32 v[54:55], v[54:55], v[156:157]
	v_fma_f64 v[156:157], v[181:182], s[2:3], v[160:161]
	v_fma_f64 v[158:159], v[185:186], s[10:11], v[164:165]
	s_delay_alu instid0(VALU_DEP_4) | instskip(SKIP_1) | instid1(VALU_DEP_4)
	v_fma_f64 v[160:161], v[181:182], s[10:11], v[162:163]
	v_fma_f64 v[162:163], v[185:186], s[2:3], v[166:167]
	;; [unrolled: 1-line block ×3, first 2 shown]
	s_delay_alu instid0(VALU_DEP_4) | instskip(SKIP_1) | instid1(VALU_DEP_4)
	v_fma_f64 v[158:159], v[54:55], s[18:19], v[158:159]
	s_add_nc_u64 s[2:3], s[12:13], 0x5780
	v_fma_f64 v[52:53], v[52:53], s[18:19], v[160:161]
	s_delay_alu instid0(VALU_DEP_4)
	v_fma_f64 v[54:55], v[54:55], s[18:19], v[162:163]
	ds_store_b128 v168, v[72:75]
	ds_store_b128 v168, v[92:95] offset:896
	ds_store_b128 v168, v[104:107] offset:1792
	;; [unrolled: 1-line block ×24, first 2 shown]
	global_wb scope:SCOPE_SE
	s_wait_dscnt 0x0
	s_barrier_signal -1
	s_barrier_wait -1
	global_inv scope:SCOPE_SE
	scratch_load_b64 v[36:37], off, off     ; 8-byte Folded Reload
	ds_load_b128 v[40:43], v168
	ds_load_b128 v[94:97], v168 offset:4480
	v_lshlrev_b32_e32 v104, 4, v189
	ds_load_b128 v[173:176], v168 offset:8960
	ds_load_b128 v[185:188], v168 offset:9856
	;; [unrolled: 1-line block ×4, first 2 shown]
	scratch_store_b32 off, v189, off offset:52 ; 4-byte Folded Spill
	ds_load_b128 v[84:87], v168 offset:13888
	ds_load_b128 v[105:108], v168 offset:5376
	;; [unrolled: 1-line block ×9, first 2 shown]
	s_wait_loadcnt 0x0
	global_load_b128 v[36:39], v[36:37], off offset:22400
	s_wait_loadcnt_dscnt 0xe
	v_mul_f64_e32 v[56:57], v[42:43], v[38:39]
	v_mul_f64_e32 v[38:39], v[40:41], v[38:39]
	s_delay_alu instid0(VALU_DEP_2) | instskip(NEXT) | instid1(VALU_DEP_2)
	v_fma_f64 v[56:57], v[40:41], v[36:37], -v[56:57]
	v_fma_f64 v[58:59], v[42:43], v[36:37], v[38:39]
	global_load_b128 v[36:39], v104, s[2:3] offset:11200
	ds_load_b128 v[40:43], v168 offset:11200
	s_wait_loadcnt_dscnt 0x0
	v_mul_f64_e32 v[60:61], v[42:43], v[38:39]
	v_mul_f64_e32 v[38:39], v[40:41], v[38:39]
	s_delay_alu instid0(VALU_DEP_2) | instskip(NEXT) | instid1(VALU_DEP_2)
	v_fma_f64 v[60:61], v[40:41], v[36:37], -v[60:61]
	v_fma_f64 v[62:63], v[42:43], v[36:37], v[38:39]
	global_load_b128 v[36:39], v104, s[2:3] offset:896
	ds_load_b128 v[40:43], v168 offset:896
	;; [unrolled: 8-line block ×6, first 2 shown]
	s_wait_loadcnt_dscnt 0x0
	v_mul_f64_e32 v[80:81], v[42:43], v[38:39]
	v_mul_f64_e32 v[38:39], v[40:41], v[38:39]
	s_delay_alu instid0(VALU_DEP_2) | instskip(NEXT) | instid1(VALU_DEP_2)
	v_fma_f64 v[80:81], v[40:41], v[36:37], -v[80:81]
	v_fma_f64 v[82:83], v[42:43], v[36:37], v[38:39]
	global_load_b128 v[38:41], v104, s[2:3] offset:13888
	s_wait_loadcnt 0x0
	v_mul_f64_e32 v[36:37], v[86:87], v[40:41]
	v_mul_f64_e32 v[40:41], v[84:85], v[40:41]
	s_delay_alu instid0(VALU_DEP_2) | instskip(NEXT) | instid1(VALU_DEP_2)
	v_fma_f64 v[36:37], v[84:85], v[38:39], -v[36:37]
	v_fma_f64 v[38:39], v[86:87], v[38:39], v[40:41]
	global_load_b128 v[84:87], v104, s[2:3] offset:3584
	ds_load_b128 v[40:43], v168 offset:3584
	s_wait_loadcnt_dscnt 0x0
	v_mul_f64_e32 v[88:89], v[42:43], v[86:87]
	v_mul_f64_e32 v[86:87], v[40:41], v[86:87]
	s_delay_alu instid0(VALU_DEP_2) | instskip(NEXT) | instid1(VALU_DEP_2)
	v_fma_f64 v[40:41], v[40:41], v[84:85], -v[88:89]
	v_fma_f64 v[42:43], v[42:43], v[84:85], v[86:87]
	global_load_b128 v[86:89], v104, s[2:3] offset:14784
	s_wait_loadcnt 0x0
	v_mul_f64_e32 v[84:85], v[92:93], v[88:89]
	v_mul_f64_e32 v[88:89], v[90:91], v[88:89]
	s_delay_alu instid0(VALU_DEP_2) | instskip(NEXT) | instid1(VALU_DEP_2)
	v_fma_f64 v[84:85], v[90:91], v[86:87], -v[84:85]
	v_fma_f64 v[86:87], v[92:93], v[86:87], v[88:89]
	global_load_b128 v[90:93], v104, s[2:3] offset:4480
	s_wait_loadcnt 0x0
	;; [unrolled: 7-line block ×4, first 2 shown]
	v_mul_f64_e32 v[96:97], v[107:108], v[100:101]
	v_mul_f64_e32 v[100:101], v[105:106], v[100:101]
	s_delay_alu instid0(VALU_DEP_2) | instskip(NEXT) | instid1(VALU_DEP_2)
	v_fma_f64 v[96:97], v[105:106], v[98:99], -v[96:97]
	v_fma_f64 v[98:99], v[107:108], v[98:99], v[100:101]
	global_load_b128 v[105:108], v104, s[2:3] offset:16576
	ds_load_b128 v[100:103], v168 offset:16576
	s_wait_loadcnt_dscnt 0x0
	v_mul_f64_e32 v[109:110], v[102:103], v[107:108]
	v_mul_f64_e32 v[107:108], v[100:101], v[107:108]
	s_delay_alu instid0(VALU_DEP_2) | instskip(NEXT) | instid1(VALU_DEP_2)
	v_fma_f64 v[100:101], v[100:101], v[105:106], -v[109:110]
	v_fma_f64 v[102:103], v[102:103], v[105:106], v[107:108]
	global_load_b128 v[105:108], v104, s[2:3] offset:6272
	s_wait_loadcnt 0x0
	v_mul_f64_e32 v[109:110], v[118:119], v[107:108]
	v_mul_f64_e32 v[120:121], v[116:117], v[107:108]
	s_delay_alu instid0(VALU_DEP_2) | instskip(NEXT) | instid1(VALU_DEP_2)
	v_fma_f64 v[107:108], v[116:117], v[105:106], -v[109:110]
	v_fma_f64 v[109:110], v[118:119], v[105:106], v[120:121]
	global_load_b128 v[116:119], v104, s[2:3] offset:17472
	ds_load_b128 v[120:123], v168 offset:17472
	s_wait_loadcnt_dscnt 0x0
	v_mul_f64_e32 v[105:106], v[122:123], v[118:119]
	v_mul_f64_e32 v[144:145], v[120:121], v[118:119]
	s_delay_alu instid0(VALU_DEP_2) | instskip(NEXT) | instid1(VALU_DEP_2)
	v_fma_f64 v[118:119], v[120:121], v[116:117], -v[105:106]
	v_fma_f64 v[120:121], v[122:123], v[116:117], v[144:145]
	global_load_b128 v[144:147], v104, s[2:3] offset:7168
	s_wait_loadcnt 0x0
	v_mul_f64_e32 v[105:106], v[150:151], v[146:147]
	v_mul_f64_e32 v[116:117], v[148:149], v[146:147]
	s_delay_alu instid0(VALU_DEP_2) | instskip(NEXT) | instid1(VALU_DEP_2)
	v_fma_f64 v[146:147], v[148:149], v[144:145], -v[105:106]
	v_fma_f64 v[148:149], v[150:151], v[144:145], v[116:117]
	global_load_b128 v[150:153], v104, s[2:3] offset:18368
	s_wait_loadcnt 0x0
	;; [unrolled: 7-line block ×8, first 2 shown]
	v_mul_f64_e32 v[105:106], v[193:194], v[189:190]
	v_mul_f64_e32 v[116:117], v[191:192], v[189:190]
	s_delay_alu instid0(VALU_DEP_2) | instskip(NEXT) | instid1(VALU_DEP_2)
	v_fma_f64 v[189:190], v[191:192], v[187:188], -v[105:106]
	v_fma_f64 v[191:192], v[193:194], v[187:188], v[116:117]
	ds_store_b128 v168, v[56:59]
	ds_store_b128 v168, v[60:63] offset:11200
	ds_store_b128 v168, v[64:67] offset:896
	;; [unrolled: 1-line block ×23, first 2 shown]
	s_and_saveexec_b32 s1, vcc_lo
	s_cbranch_execz .LBB0_21
; %bb.20:
	s_wait_alu 0xfffe
	v_add_co_u32 v40, s2, s2, v104
	s_wait_alu 0xf1ff
	v_add_co_ci_u32_e64 v41, null, s3, 0, s2
	s_clause 0x1
	global_load_b128 v[36:39], v[40:41], off offset:10752
	global_load_b128 v[40:43], v[40:41], off offset:21952
	ds_load_b128 v[56:59], v168 offset:10752
	ds_load_b128 v[60:63], v168 offset:21952
	s_wait_loadcnt_dscnt 0x101
	v_mul_f64_e32 v[64:65], v[58:59], v[38:39]
	v_mul_f64_e32 v[38:39], v[56:57], v[38:39]
	s_wait_loadcnt_dscnt 0x0
	v_mul_f64_e32 v[66:67], v[62:63], v[42:43]
	v_mul_f64_e32 v[42:43], v[60:61], v[42:43]
	s_delay_alu instid0(VALU_DEP_4) | instskip(NEXT) | instid1(VALU_DEP_4)
	v_fma_f64 v[56:57], v[56:57], v[36:37], -v[64:65]
	v_fma_f64 v[58:59], v[58:59], v[36:37], v[38:39]
	s_delay_alu instid0(VALU_DEP_4) | instskip(NEXT) | instid1(VALU_DEP_4)
	v_fma_f64 v[36:37], v[60:61], v[40:41], -v[66:67]
	v_fma_f64 v[38:39], v[62:63], v[40:41], v[42:43]
	ds_store_b128 v168, v[56:59] offset:10752
	ds_store_b128 v168, v[36:39] offset:21952
.LBB0_21:
	s_wait_alu 0xfffe
	s_or_b32 exec_lo, exec_lo, s1
	global_wb scope:SCOPE_SE
	s_wait_storecnt_dscnt 0x0
	s_barrier_signal -1
	s_barrier_wait -1
	global_inv scope:SCOPE_SE
	ds_load_b128 v[160:163], v168
	ds_load_b128 v[152:155], v168 offset:896
	ds_load_b128 v[164:167], v168 offset:11200
	ds_load_b128 v[156:159], v168 offset:12096
	ds_load_b128 v[144:147], v168 offset:1792
	ds_load_b128 v[116:119], v168 offset:2688
	ds_load_b128 v[148:151], v168 offset:12992
	ds_load_b128 v[120:123], v168 offset:13888
	ds_load_b128 v[104:107], v168 offset:3584
	ds_load_b128 v[96:99], v168 offset:4480
	ds_load_b128 v[108:111], v168 offset:14784
	ds_load_b128 v[100:103], v168 offset:15680
	ds_load_b128 v[36:39], v168 offset:5376
	ds_load_b128 v[40:43], v168 offset:6272
	ds_load_b128 v[76:79], v168 offset:16576
	ds_load_b128 v[72:75], v168 offset:17472
	ds_load_b128 v[56:59], v168 offset:7168
	ds_load_b128 v[60:63], v168 offset:8064
	ds_load_b128 v[84:87], v168 offset:18368
	ds_load_b128 v[80:83], v168 offset:19264
	ds_load_b128 v[64:67], v168 offset:8960
	ds_load_b128 v[68:71], v168 offset:9856
	ds_load_b128 v[92:95], v168 offset:20160
	ds_load_b128 v[88:91], v168 offset:21056
	s_and_saveexec_b32 s1, vcc_lo
	s_cbranch_execz .LBB0_23
; %bb.22:
	ds_load_b128 v[52:55], v168 offset:10752
	ds_load_b128 v[48:51], v168 offset:21952
.LBB0_23:
	s_wait_alu 0xfffe
	s_or_b32 exec_lo, exec_lo, s1
	global_wb scope:SCOPE_SE
	s_wait_dscnt 0x0
	s_barrier_signal -1
	s_barrier_wait -1
	global_inv scope:SCOPE_SE
	scratch_load_b32 v169, off, off offset:448 th:TH_LOAD_LU ; 4-byte Folded Reload
	v_add_f64_e64 v[164:165], v[160:161], -v[164:165]
	v_add_f64_e64 v[166:167], v[162:163], -v[166:167]
	;; [unrolled: 1-line block ×22, first 2 shown]
	v_fma_f64 v[160:161], v[160:161], 2.0, -v[164:165]
	v_fma_f64 v[162:163], v[162:163], 2.0, -v[166:167]
	;; [unrolled: 1-line block ×12, first 2 shown]
	s_wait_loadcnt 0x0
	ds_store_b128 v169, v[164:167] offset:16
	ds_store_b128 v169, v[160:163]
	scratch_load_b32 v160, off, off offset:452 th:TH_LOAD_LU ; 4-byte Folded Reload
	v_fma_f64 v[40:41], v[40:41], 2.0, -v[72:73]
	v_fma_f64 v[42:43], v[42:43], 2.0, -v[74:75]
	;; [unrolled: 1-line block ×8, first 2 shown]
	s_wait_loadcnt 0x0
	ds_store_b128 v160, v[152:155]
	ds_store_b128 v160, v[156:159] offset:16
	scratch_load_b32 v152, off, off offset:464 th:TH_LOAD_LU ; 4-byte Folded Reload
	s_wait_loadcnt 0x0
	ds_store_b128 v152, v[144:147]
	ds_store_b128 v152, v[148:151] offset:16
	scratch_load_b32 v144, off, off offset:468 th:TH_LOAD_LU ; 4-byte Folded Reload
	;; [unrolled: 4-line block ×4, first 2 shown]
	s_wait_loadcnt 0x0
	ds_store_b128 v104, v[96:99]
	ds_store_b128 v104, v[100:103] offset:16
	v_add_f64_e64 v[96:97], v[64:65], -v[92:93]
	v_add_f64_e64 v[92:93], v[52:53], -v[48:49]
	v_fma_f64 v[48:49], v[36:37], 2.0, -v[76:77]
	v_add_f64_e64 v[98:99], v[66:67], -v[94:95]
	v_add_f64_e64 v[94:95], v[54:55], -v[50:51]
	v_fma_f64 v[50:51], v[38:39], 2.0, -v[78:79]
	v_fma_f64 v[64:65], v[64:65], 2.0, -v[96:97]
	;; [unrolled: 1-line block ×3, first 2 shown]
	scratch_load_b32 v52, off, off offset:460 th:TH_LOAD_LU ; 4-byte Folded Reload
	v_fma_f64 v[66:67], v[66:67], 2.0, -v[98:99]
	v_fma_f64 v[38:39], v[54:55], 2.0, -v[94:95]
	s_wait_loadcnt 0x0
	ds_store_b128 v52, v[48:51]
	ds_store_b128 v52, v[76:79] offset:16
	scratch_load_b32 v48, off, off offset:456 th:TH_LOAD_LU ; 4-byte Folded Reload
	s_wait_loadcnt 0x0
	ds_store_b128 v48, v[40:43]
	ds_store_b128 v48, v[72:75] offset:16
	scratch_load_b32 v40, off, off offset:476 th:TH_LOAD_LU ; 4-byte Folded Reload
	;; [unrolled: 4-line block ×5, first 2 shown]
	s_wait_loadcnt 0x0
	ds_store_b128 v40, v[68:71]
	ds_store_b128 v40, v[88:91] offset:16
	s_and_saveexec_b32 s1, vcc_lo
	s_cbranch_execz .LBB0_25
; %bb.24:
	scratch_load_b32 v40, off, off offset:932 th:TH_LOAD_LU ; 4-byte Folded Reload
	s_wait_loadcnt 0x0
	ds_store_b128 v40, v[36:39]
	ds_store_b128 v40, v[92:95] offset:16
.LBB0_25:
	s_wait_alu 0xfffe
	s_or_b32 exec_lo, exec_lo, s1
	global_wb scope:SCOPE_SE
	s_wait_dscnt 0x0
	s_barrier_signal -1
	s_barrier_wait -1
	global_inv scope:SCOPE_SE
	ds_load_b128 v[88:91], v168
	ds_load_b128 v[84:87], v168 offset:896
	ds_load_b128 v[164:167], v168 offset:11200
	ds_load_b128 v[156:159], v168 offset:12096
	ds_load_b128 v[80:83], v168 offset:1792
	ds_load_b128 v[76:79], v168 offset:2688
	ds_load_b128 v[160:163], v168 offset:12992
	ds_load_b128 v[148:151], v168 offset:13888
	ds_load_b128 v[72:75], v168 offset:3584
	ds_load_b128 v[68:71], v168 offset:4480
	ds_load_b128 v[152:155], v168 offset:14784
	ds_load_b128 v[120:123], v168 offset:15680
	ds_load_b128 v[64:67], v168 offset:5376
	ds_load_b128 v[60:63], v168 offset:6272
	ds_load_b128 v[144:147], v168 offset:16576
	ds_load_b128 v[108:111], v168 offset:17472
	ds_load_b128 v[56:59], v168 offset:7168
	ds_load_b128 v[52:55], v168 offset:8064
	ds_load_b128 v[116:119], v168 offset:18368
	ds_load_b128 v[100:103], v168 offset:19264
	ds_load_b128 v[48:51], v168 offset:8960
	ds_load_b128 v[40:43], v168 offset:9856
	ds_load_b128 v[104:107], v168 offset:20160
	ds_load_b128 v[96:99], v168 offset:21056
	s_and_saveexec_b32 s1, vcc_lo
	s_cbranch_execz .LBB0_27
; %bb.26:
	ds_load_b128 v[36:39], v168 offset:10752
	ds_load_b128 v[92:95], v168 offset:21952
.LBB0_27:
	s_wait_alu 0xfffe
	s_or_b32 exec_lo, exec_lo, s1
	s_wait_dscnt 0x15
	v_mul_f64_e32 v[169:170], v[138:139], v[166:167]
	global_wb scope:SCOPE_SE
	s_wait_dscnt 0x0
	s_barrier_signal -1
	s_barrier_wait -1
	global_inv scope:SCOPE_SE
	v_fma_f64 v[169:170], v[136:137], v[164:165], v[169:170]
	v_mul_f64_e32 v[164:165], v[138:139], v[164:165]
	s_delay_alu instid0(VALU_DEP_1) | instskip(SKIP_1) | instid1(VALU_DEP_1)
	v_fma_f64 v[164:165], v[136:137], v[166:167], -v[164:165]
	v_mul_f64_e32 v[166:167], v[138:139], v[158:159]
	v_fma_f64 v[166:167], v[136:137], v[156:157], v[166:167]
	v_mul_f64_e32 v[156:157], v[138:139], v[156:157]
	s_delay_alu instid0(VALU_DEP_1) | instskip(SKIP_1) | instid1(VALU_DEP_1)
	v_fma_f64 v[156:157], v[136:137], v[158:159], -v[156:157]
	v_mul_f64_e32 v[158:159], v[138:139], v[162:163]
	;; [unrolled: 5-line block ×11, first 2 shown]
	v_fma_f64 v[106:107], v[136:137], v[96:97], v[106:107]
	v_mul_f64_e32 v[96:97], v[138:139], v[96:97]
	s_delay_alu instid0(VALU_DEP_1) | instskip(SKIP_1) | instid1(VALU_DEP_2)
	v_fma_f64 v[98:99], v[136:137], v[98:99], -v[96:97]
	v_mul_f64_e32 v[96:97], v[138:139], v[94:95]
	v_add_f64_e64 v[98:99], v[42:43], -v[98:99]
	s_delay_alu instid0(VALU_DEP_2) | instskip(SKIP_3) | instid1(VALU_DEP_2)
	v_fma_f64 v[171:172], v[136:137], v[92:93], v[96:97]
	scratch_load_b32 v96, off, off offset:540 th:TH_LOAD_LU ; 4-byte Folded Reload
	v_mul_f64_e32 v[92:93], v[138:139], v[92:93]
	v_fma_f64 v[42:43], v[42:43], 2.0, -v[98:99]
	v_fma_f64 v[136:137], v[136:137], v[94:95], -v[92:93]
	v_add_f64_e64 v[92:93], v[88:89], -v[169:170]
	v_add_f64_e64 v[94:95], v[90:91], -v[164:165]
	s_delay_alu instid0(VALU_DEP_2) | instskip(NEXT) | instid1(VALU_DEP_2)
	v_fma_f64 v[88:89], v[88:89], 2.0, -v[92:93]
	v_fma_f64 v[90:91], v[90:91], 2.0, -v[94:95]
	s_wait_loadcnt 0x0
	ds_store_b128 v96, v[92:95] offset:32
	ds_store_b128 v96, v[88:91]
	scratch_load_b32 v92, off, off offset:548 th:TH_LOAD_LU ; 4-byte Folded Reload
	v_add_f64_e64 v[88:89], v[84:85], -v[166:167]
	v_add_f64_e64 v[90:91], v[86:87], -v[156:157]
	v_add_f64_e64 v[94:95], v[50:51], -v[104:105]
	v_add_f64_e64 v[96:97], v[40:41], -v[106:107]
	s_delay_alu instid0(VALU_DEP_4) | instskip(NEXT) | instid1(VALU_DEP_4)
	v_fma_f64 v[84:85], v[84:85], 2.0, -v[88:89]
	v_fma_f64 v[86:87], v[86:87], 2.0, -v[90:91]
	s_delay_alu instid0(VALU_DEP_4) | instskip(NEXT) | instid1(VALU_DEP_4)
	v_fma_f64 v[50:51], v[50:51], 2.0, -v[94:95]
	v_fma_f64 v[40:41], v[40:41], 2.0, -v[96:97]
	s_wait_loadcnt 0x0
	ds_store_b128 v92, v[84:87]
	ds_store_b128 v92, v[88:91] offset:32
	scratch_load_b32 v88, off, off offset:536 th:TH_LOAD_LU ; 4-byte Folded Reload
	v_add_f64_e64 v[84:85], v[80:81], -v[158:159]
	v_add_f64_e64 v[86:87], v[82:83], -v[160:161]
	;; [unrolled: 1-line block ×3, first 2 shown]
	s_delay_alu instid0(VALU_DEP_3) | instskip(NEXT) | instid1(VALU_DEP_3)
	v_fma_f64 v[80:81], v[80:81], 2.0, -v[84:85]
	v_fma_f64 v[82:83], v[82:83], 2.0, -v[86:87]
	s_delay_alu instid0(VALU_DEP_3)
	v_fma_f64 v[48:49], v[48:49], 2.0, -v[92:93]
	s_wait_loadcnt 0x0
	ds_store_b128 v88, v[80:83]
	ds_store_b128 v88, v[84:87] offset:32
	scratch_load_b32 v84, off, off offset:528 th:TH_LOAD_LU ; 4-byte Folded Reload
	v_add_f64_e64 v[80:81], v[76:77], -v[162:163]
	v_add_f64_e64 v[82:83], v[78:79], -v[148:149]
	;; [unrolled: 1-line block ×3, first 2 shown]
	s_delay_alu instid0(VALU_DEP_3) | instskip(NEXT) | instid1(VALU_DEP_3)
	v_fma_f64 v[76:77], v[76:77], 2.0, -v[80:81]
	v_fma_f64 v[78:79], v[78:79], 2.0, -v[82:83]
	s_delay_alu instid0(VALU_DEP_3)
	v_fma_f64 v[90:91], v[54:55], 2.0, -v[86:87]
	s_wait_loadcnt 0x0
	ds_store_b128 v84, v[76:79]
	ds_store_b128 v84, v[80:83] offset:32
	scratch_load_b32 v80, off, off offset:524 th:TH_LOAD_LU ; 4-byte Folded Reload
	v_add_f64_e64 v[76:77], v[72:73], -v[150:151]
	v_add_f64_e64 v[78:79], v[74:75], -v[152:153]
	;; [unrolled: 1-line block ×4, first 2 shown]
	s_delay_alu instid0(VALU_DEP_4) | instskip(NEXT) | instid1(VALU_DEP_4)
	v_fma_f64 v[72:73], v[72:73], 2.0, -v[76:77]
	v_fma_f64 v[74:75], v[74:75], 2.0, -v[78:79]
	s_delay_alu instid0(VALU_DEP_4) | instskip(NEXT) | instid1(VALU_DEP_4)
	v_fma_f64 v[88:89], v[52:53], 2.0, -v[84:85]
	v_fma_f64 v[58:59], v[58:59], 2.0, -v[82:83]
	s_wait_loadcnt 0x0
	ds_store_b128 v80, v[72:75]
	ds_store_b128 v80, v[76:79] offset:32
	scratch_load_b32 v76, off, off offset:520 th:TH_LOAD_LU ; 4-byte Folded Reload
	v_add_f64_e64 v[72:73], v[68:69], -v[154:155]
	v_add_f64_e64 v[74:75], v[70:71], -v[120:121]
	;; [unrolled: 1-line block ×4, first 2 shown]
	s_delay_alu instid0(VALU_DEP_4) | instskip(NEXT) | instid1(VALU_DEP_4)
	v_fma_f64 v[68:69], v[68:69], 2.0, -v[72:73]
	v_fma_f64 v[70:71], v[70:71], 2.0, -v[74:75]
	s_delay_alu instid0(VALU_DEP_4) | instskip(NEXT) | instid1(VALU_DEP_4)
	v_fma_f64 v[56:57], v[56:57], 2.0, -v[80:81]
	v_fma_f64 v[54:55], v[38:39], 2.0, -v[78:79]
	s_wait_loadcnt 0x0
	ds_store_b128 v76, v[68:71]
	ds_store_b128 v76, v[72:75] offset:32
	v_add_f64_e64 v[76:77], v[36:37], -v[171:172]
	v_add_f64_e64 v[68:69], v[64:65], -v[122:123]
	;; [unrolled: 1-line block ×5, first 2 shown]
	v_fma_f64 v[52:53], v[36:37], 2.0, -v[76:77]
	scratch_load_b32 v36, off, off offset:516 th:TH_LOAD_LU ; 4-byte Folded Reload
	v_fma_f64 v[64:65], v[64:65], 2.0, -v[68:69]
	v_fma_f64 v[66:67], v[66:67], 2.0, -v[70:71]
	;; [unrolled: 1-line block ×4, first 2 shown]
	s_wait_loadcnt 0x0
	ds_store_b128 v36, v[64:67]
	ds_store_b128 v36, v[68:71] offset:32
	scratch_load_b32 v36, off, off offset:512 th:TH_LOAD_LU ; 4-byte Folded Reload
	s_wait_loadcnt 0x0
	ds_store_b128 v36, v[60:63]
	ds_store_b128 v36, v[72:75] offset:32
	scratch_load_b32 v36, off, off offset:508 th:TH_LOAD_LU ; 4-byte Folded Reload
	s_wait_loadcnt 0x0
	ds_store_b128 v36, v[56:59]
	ds_store_b128 v36, v[80:83] offset:32
	scratch_load_b32 v36, off, off offset:504 th:TH_LOAD_LU ; 4-byte Folded Reload
	s_wait_loadcnt 0x0
	ds_store_b128 v36, v[88:91]
	ds_store_b128 v36, v[84:87] offset:32
	scratch_load_b32 v36, off, off offset:500 th:TH_LOAD_LU ; 4-byte Folded Reload
	s_wait_loadcnt 0x0
	ds_store_b128 v36, v[48:51]
	ds_store_b128 v36, v[92:95] offset:32
	scratch_load_b32 v36, off, off offset:496 th:TH_LOAD_LU ; 4-byte Folded Reload
	s_wait_loadcnt 0x0
	ds_store_b128 v36, v[40:43]
	ds_store_b128 v36, v[96:99] offset:32
	s_and_saveexec_b32 s1, vcc_lo
	s_cbranch_execz .LBB0_29
; %bb.28:
	s_clause 0x1
	scratch_load_b32 v36, off, off offset:8
	scratch_load_b32 v37, off, off offset:828 th:TH_LOAD_LU
	s_wait_loadcnt 0x0
	v_and_or_b32 v36, 0x57c, v36, v37
	s_delay_alu instid0(VALU_DEP_1)
	v_lshlrev_b32_e32 v36, 4, v36
	ds_store_b128 v36, v[52:55]
	ds_store_b128 v36, v[76:79] offset:32
.LBB0_29:
	s_wait_alu 0xfffe
	s_or_b32 exec_lo, exec_lo, s1
	global_wb scope:SCOPE_SE
	s_wait_dscnt 0x0
	s_barrier_signal -1
	s_barrier_wait -1
	global_inv scope:SCOPE_SE
	ds_load_b128 v[92:95], v168
	ds_load_b128 v[88:91], v168 offset:896
	ds_load_b128 v[160:163], v168 offset:11200
	;; [unrolled: 1-line block ×23, first 2 shown]
	s_and_saveexec_b32 s1, vcc_lo
	s_cbranch_execz .LBB0_31
; %bb.30:
	ds_load_b128 v[52:55], v168 offset:10752
	ds_load_b128 v[76:79], v168 offset:21952
.LBB0_31:
	s_wait_alu 0xfffe
	s_or_b32 exec_lo, exec_lo, s1
	s_wait_dscnt 0x15
	v_mul_f64_e32 v[164:165], v[134:135], v[162:163]
	global_wb scope:SCOPE_SE
	s_wait_dscnt 0x0
	s_barrier_signal -1
	s_barrier_wait -1
	global_inv scope:SCOPE_SE
	v_fma_f64 v[164:165], v[132:133], v[160:161], v[164:165]
	v_mul_f64_e32 v[160:161], v[134:135], v[160:161]
	s_delay_alu instid0(VALU_DEP_1) | instskip(SKIP_1) | instid1(VALU_DEP_1)
	v_fma_f64 v[160:161], v[132:133], v[162:163], -v[160:161]
	v_mul_f64_e32 v[162:163], v[134:135], v[154:155]
	v_fma_f64 v[162:163], v[132:133], v[152:153], v[162:163]
	v_mul_f64_e32 v[152:153], v[134:135], v[152:153]
	s_delay_alu instid0(VALU_DEP_1) | instskip(SKIP_1) | instid1(VALU_DEP_1)
	v_fma_f64 v[152:153], v[132:133], v[154:155], -v[152:153]
	v_mul_f64_e32 v[154:155], v[134:135], v[158:159]
	;; [unrolled: 5-line block ×12, first 2 shown]
	v_fma_f64 v[98:99], v[132:133], v[76:77], v[98:99]
	v_mul_f64_e32 v[76:77], v[134:135], v[76:77]
	scratch_load_b32 v134, off, off offset:584 th:TH_LOAD_LU ; 4-byte Folded Reload
	v_fma_f64 v[132:133], v[132:133], v[78:79], -v[76:77]
	v_add_f64_e64 v[76:77], v[92:93], -v[164:165]
	v_add_f64_e64 v[78:79], v[94:95], -v[160:161]
	s_delay_alu instid0(VALU_DEP_2) | instskip(NEXT) | instid1(VALU_DEP_2)
	v_fma_f64 v[92:93], v[92:93], 2.0, -v[76:77]
	v_fma_f64 v[94:95], v[94:95], 2.0, -v[78:79]
	s_wait_loadcnt 0x0
	ds_store_b128 v134, v[76:79] offset:64
	ds_store_b128 v134, v[92:95]
	scratch_load_b32 v92, off, off offset:588 th:TH_LOAD_LU ; 4-byte Folded Reload
	v_add_f64_e64 v[76:77], v[88:89], -v[162:163]
	v_add_f64_e64 v[78:79], v[90:91], -v[152:153]
	;; [unrolled: 1-line block ×3, first 2 shown]
	s_delay_alu instid0(VALU_DEP_3) | instskip(NEXT) | instid1(VALU_DEP_3)
	v_fma_f64 v[88:89], v[88:89], 2.0, -v[76:77]
	v_fma_f64 v[90:91], v[90:91], 2.0, -v[78:79]
	s_delay_alu instid0(VALU_DEP_3)
	v_fma_f64 v[38:39], v[38:39], 2.0, -v[94:95]
	s_wait_loadcnt 0x0
	ds_store_b128 v92, v[88:91]
	ds_store_b128 v92, v[76:79] offset:64
	scratch_load_b32 v88, off, off offset:580 th:TH_LOAD_LU ; 4-byte Folded Reload
	v_add_f64_e64 v[76:77], v[84:85], -v[154:155]
	v_add_f64_e64 v[78:79], v[86:87], -v[156:157]
	;; [unrolled: 1-line block ×4, first 2 shown]
	s_delay_alu instid0(VALU_DEP_4) | instskip(NEXT) | instid1(VALU_DEP_4)
	v_fma_f64 v[84:85], v[84:85], 2.0, -v[76:77]
	v_fma_f64 v[86:87], v[86:87], 2.0, -v[78:79]
	s_delay_alu instid0(VALU_DEP_4) | instskip(NEXT) | instid1(VALU_DEP_4)
	v_fma_f64 v[42:43], v[42:43], 2.0, -v[90:91]
	v_fma_f64 v[36:37], v[36:37], 2.0, -v[92:93]
	s_wait_loadcnt 0x0
	ds_store_b128 v88, v[84:87]
	ds_store_b128 v88, v[76:79] offset:64
	scratch_load_b32 v84, off, off offset:576 th:TH_LOAD_LU ; 4-byte Folded Reload
	v_add_f64_e64 v[76:77], v[80:81], -v[158:159]
	v_add_f64_e64 v[78:79], v[82:83], -v[144:145]
	;; [unrolled: 1-line block ×3, first 2 shown]
	s_delay_alu instid0(VALU_DEP_3) | instskip(NEXT) | instid1(VALU_DEP_3)
	v_fma_f64 v[80:81], v[80:81], 2.0, -v[76:77]
	v_fma_f64 v[82:83], v[82:83], 2.0, -v[78:79]
	s_delay_alu instid0(VALU_DEP_3)
	v_fma_f64 v[40:41], v[40:41], 2.0, -v[88:89]
	s_wait_loadcnt 0x0
	ds_store_b128 v84, v[80:83]
	ds_store_b128 v84, v[76:79] offset:64
	scratch_load_b32 v80, off, off offset:572 th:TH_LOAD_LU ; 4-byte Folded Reload
	v_add_f64_e64 v[76:77], v[72:73], -v[146:147]
	v_add_f64_e64 v[78:79], v[74:75], -v[148:149]
	;; [unrolled: 1-line block ×3, first 2 shown]
	s_delay_alu instid0(VALU_DEP_3) | instskip(NEXT) | instid1(VALU_DEP_3)
	v_fma_f64 v[72:73], v[72:73], 2.0, -v[76:77]
	v_fma_f64 v[74:75], v[74:75], 2.0, -v[78:79]
	s_delay_alu instid0(VALU_DEP_3)
	v_fma_f64 v[86:87], v[50:51], 2.0, -v[82:83]
	v_add_f64_e64 v[50:51], v[54:55], -v[132:133]
	s_wait_loadcnt 0x0
	ds_store_b128 v80, v[72:75]
	ds_store_b128 v80, v[76:79] offset:64
	scratch_load_b32 v76, off, off offset:568 th:TH_LOAD_LU ; 4-byte Folded Reload
	v_add_f64_e64 v[72:73], v[68:69], -v[150:151]
	v_add_f64_e64 v[74:75], v[70:71], -v[120:121]
	v_add_f64_e64 v[78:79], v[58:59], -v[116:117]
	v_add_f64_e64 v[80:81], v[48:49], -v[118:119]
	s_delay_alu instid0(VALU_DEP_4) | instskip(NEXT) | instid1(VALU_DEP_4)
	v_fma_f64 v[68:69], v[68:69], 2.0, -v[72:73]
	v_fma_f64 v[70:71], v[70:71], 2.0, -v[74:75]
	s_delay_alu instid0(VALU_DEP_4) | instskip(NEXT) | instid1(VALU_DEP_4)
	v_fma_f64 v[58:59], v[58:59], 2.0, -v[78:79]
	v_fma_f64 v[84:85], v[48:49], 2.0, -v[80:81]
	v_add_f64_e64 v[48:49], v[52:53], -v[98:99]
	s_wait_loadcnt 0x0
	ds_store_b128 v76, v[68:71]
	ds_store_b128 v76, v[72:75] offset:64
	scratch_load_b32 v96, off, off offset:564 th:TH_LOAD_LU ; 4-byte Folded Reload
	v_add_f64_e64 v[68:69], v[64:65], -v[122:123]
	v_add_f64_e64 v[70:71], v[66:67], -v[136:137]
	;; [unrolled: 1-line block ×5, first 2 shown]
	v_fma_f64 v[64:65], v[64:65], 2.0, -v[68:69]
	v_fma_f64 v[66:67], v[66:67], 2.0, -v[70:71]
	;; [unrolled: 1-line block ×5, first 2 shown]
	s_wait_loadcnt 0x0
	ds_store_b128 v96, v[64:67]
	ds_store_b128 v96, v[68:71] offset:64
	scratch_load_b32 v64, off, off offset:560 th:TH_LOAD_LU ; 4-byte Folded Reload
	s_wait_loadcnt 0x0
	ds_store_b128 v64, v[60:63]
	ds_store_b128 v64, v[72:75] offset:64
	scratch_load_b32 v60, off, off offset:556 th:TH_LOAD_LU ; 4-byte Folded Reload
	;; [unrolled: 4-line block ×5, first 2 shown]
	s_wait_loadcnt 0x0
	ds_store_b128 v40, v[36:39]
	ds_store_b128 v40, v[92:95] offset:64
	s_and_saveexec_b32 s1, vcc_lo
	s_cbranch_execz .LBB0_33
; %bb.32:
	s_clause 0x1
	scratch_load_b32 v40, off, off offset:8 th:TH_LOAD_LU
	scratch_load_b32 v41, off, off offset:832 th:TH_LOAD_LU
	v_fma_f64 v[38:39], v[54:55], 2.0, -v[50:51]
	v_fma_f64 v[36:37], v[52:53], 2.0, -v[48:49]
	s_wait_loadcnt 0x0
	v_and_or_b32 v40, 0x578, v40, v41
	s_delay_alu instid0(VALU_DEP_1)
	v_lshlrev_b32_e32 v40, 4, v40
	ds_store_b128 v40, v[36:39]
	ds_store_b128 v40, v[48:51] offset:64
.LBB0_33:
	s_wait_alu 0xfffe
	s_or_b32 exec_lo, exec_lo, s1
	global_wb scope:SCOPE_SE
	s_wait_dscnt 0x0
	s_barrier_signal -1
	s_barrier_wait -1
	global_inv scope:SCOPE_SE
	ds_load_b128 v[36:39], v168 offset:4480
	ds_load_b128 v[40:43], v168 offset:5376
	;; [unrolled: 1-line block ×6, first 2 shown]
	s_mov_b32 s12, 0x134454ff
	s_mov_b32 s13, 0xbfee6f0e
	;; [unrolled: 1-line block ×3, first 2 shown]
	s_wait_alu 0xfffe
	s_mov_b32 s14, s12
	s_mov_b32 s2, 0x4755a5e
	s_mov_b32 s3, 0xbfe2cf23
	s_mov_b32 s11, 0x3fe2cf23
	s_wait_alu 0xfffe
	s_mov_b32 s10, s2
	s_mov_b32 s16, 0x372fe950
	;; [unrolled: 1-line block ×3, first 2 shown]
	ds_load_b128 v[116:119], v168 offset:21504
	s_wait_dscnt 0x6
	v_mul_f64_e32 v[62:63], v[142:143], v[36:37]
	v_mul_f64_e32 v[60:61], v[142:143], v[38:39]
	s_wait_dscnt 0x5
	v_mul_f64_e32 v[64:65], v[142:143], v[42:43]
	s_wait_dscnt 0x4
	v_mul_f64_e32 v[76:77], v[142:143], v[54:55]
	v_mul_f64_e32 v[78:79], v[142:143], v[52:53]
	s_wait_dscnt 0x2
	v_mul_f64_e32 v[84:85], v[142:143], v[70:71]
	v_mul_f64_e32 v[80:81], v[142:143], v[58:59]
	;; [unrolled: 1-line block ×4, first 2 shown]
	v_fma_f64 v[108:109], v[140:141], v[38:39], -v[62:63]
	v_mul_f64_e32 v[38:39], v[142:143], v[68:69]
	v_fma_f64 v[110:111], v[140:141], v[36:37], v[60:61]
	v_fma_f64 v[62:63], v[140:141], v[40:41], v[64:65]
	;; [unrolled: 1-line block ×3, first 2 shown]
	v_fma_f64 v[60:61], v[140:141], v[54:55], -v[78:79]
	ds_load_b128 v[76:79], v168 offset:9856
	s_wait_dscnt 0x2
	v_mul_f64_e32 v[40:41], v[130:131], v[74:75]
	v_fma_f64 v[36:37], v[140:141], v[68:69], v[84:85]
	v_fma_f64 v[52:53], v[140:141], v[56:57], v[80:81]
	ds_load_b128 v[54:57], v168 offset:10752
	v_fma_f64 v[66:67], v[140:141], v[42:43], -v[66:67]
	v_fma_f64 v[42:43], v[140:141], v[58:59], -v[82:83]
	v_mul_f64_e32 v[58:59], v[130:131], v[72:73]
	s_wait_dscnt 0x1
	v_mul_f64_e32 v[68:69], v[130:131], v[78:79]
	v_fma_f64 v[38:39], v[140:141], v[70:71], -v[38:39]
	v_mul_f64_e32 v[70:71], v[130:131], v[76:77]
	v_fma_f64 v[132:133], v[128:129], v[72:73], v[40:41]
	v_fma_f64 v[134:135], v[128:129], v[74:75], -v[58:59]
	v_fma_f64 v[90:91], v[128:129], v[76:77], v[68:69]
	s_delay_alu instid0(VALU_DEP_4)
	v_fma_f64 v[88:89], v[128:129], v[78:79], -v[70:71]
	ds_load_b128 v[68:71], v168 offset:11648
	s_wait_dscnt 0x1
	v_mul_f64_e32 v[40:41], v[130:131], v[54:55]
	v_mul_f64_e32 v[80:81], v[130:131], v[56:57]
	v_add_f64_e64 v[148:149], v[110:111], -v[132:133]
	s_wait_dscnt 0x0
	v_mul_f64_e32 v[58:59], v[130:131], v[70:71]
	s_delay_alu instid0(VALU_DEP_4) | instskip(SKIP_2) | instid1(VALU_DEP_4)
	v_fma_f64 v[72:73], v[128:129], v[56:57], -v[40:41]
	v_mul_f64_e32 v[40:41], v[130:131], v[68:69]
	v_fma_f64 v[74:75], v[128:129], v[54:55], v[80:81]
	v_fma_f64 v[56:57], v[128:129], v[68:69], v[58:59]
	s_delay_alu instid0(VALU_DEP_3) | instskip(SKIP_4) | instid1(VALU_DEP_2)
	v_fma_f64 v[54:55], v[128:129], v[70:71], -v[40:41]
	ds_load_b128 v[68:71], v168 offset:12544
	s_wait_dscnt 0x0
	v_mul_f64_e32 v[40:41], v[130:131], v[70:71]
	v_mul_f64_e32 v[58:59], v[130:131], v[68:69]
	v_fma_f64 v[40:41], v[128:129], v[68:69], v[40:41]
	s_delay_alu instid0(VALU_DEP_2) | instskip(SKIP_3) | instid1(VALU_DEP_1)
	v_fma_f64 v[58:59], v[128:129], v[70:71], -v[58:59]
	ds_load_b128 v[68:71], v168 offset:13440
	s_wait_dscnt 0x0
	v_mul_f64_e32 v[76:77], v[126:127], v[70:71]
	v_fma_f64 v[128:129], v[124:125], v[68:69], v[76:77]
	v_mul_f64_e32 v[68:69], v[126:127], v[68:69]
	s_delay_alu instid0(VALU_DEP_2) | instskip(NEXT) | instid1(VALU_DEP_2)
	v_add_f64_e64 v[144:145], v[132:133], -v[128:129]
	v_fma_f64 v[130:131], v[124:125], v[70:71], -v[68:69]
	ds_load_b128 v[68:71], v168 offset:14336
	s_wait_dscnt 0x0
	v_mul_f64_e32 v[76:77], v[126:127], v[70:71]
	v_add_f64_e64 v[140:141], v[134:135], -v[130:131]
	s_delay_alu instid0(VALU_DEP_2) | instskip(SKIP_1) | instid1(VALU_DEP_1)
	v_fma_f64 v[102:103], v[124:125], v[68:69], v[76:77]
	v_mul_f64_e32 v[68:69], v[126:127], v[68:69]
	v_fma_f64 v[100:101], v[124:125], v[70:71], -v[68:69]
	ds_load_b128 v[68:71], v168 offset:15232
	s_wait_dscnt 0x0
	v_mul_f64_e32 v[76:77], v[126:127], v[70:71]
	s_delay_alu instid0(VALU_DEP_1) | instskip(SKIP_1) | instid1(VALU_DEP_1)
	v_fma_f64 v[94:95], v[124:125], v[68:69], v[76:77]
	v_mul_f64_e32 v[68:69], v[126:127], v[68:69]
	v_fma_f64 v[92:93], v[124:125], v[70:71], -v[68:69]
	ds_load_b128 v[68:71], v168 offset:16128
	s_wait_dscnt 0x0
	v_mul_f64_e32 v[76:77], v[126:127], v[70:71]
	s_delay_alu instid0(VALU_DEP_1)
	v_fma_f64 v[82:83], v[124:125], v[68:69], v[76:77]
	v_mul_f64_e32 v[68:69], v[126:127], v[68:69]
	ds_load_b128 v[76:79], v168 offset:17024
	v_fma_f64 v[80:81], v[124:125], v[70:71], -v[68:69]
	s_wait_dscnt 0x0
	v_mul_f64_e32 v[68:69], v[126:127], v[78:79]
	s_delay_alu instid0(VALU_DEP_1) | instskip(SKIP_1) | instid1(VALU_DEP_1)
	v_fma_f64 v[70:71], v[124:125], v[76:77], v[68:69]
	v_mul_f64_e32 v[68:69], v[126:127], v[76:77]
	v_fma_f64 v[68:69], v[124:125], v[78:79], -v[68:69]
	ds_load_b128 v[76:79], v168 offset:17920
	s_wait_dscnt 0x0
	v_mul_f64_e32 v[84:85], v[114:115], v[78:79]
	s_delay_alu instid0(VALU_DEP_1) | instskip(SKIP_1) | instid1(VALU_DEP_2)
	v_fma_f64 v[124:125], v[112:113], v[76:77], v[84:85]
	v_mul_f64_e32 v[76:77], v[114:115], v[76:77]
	v_add_f64_e64 v[146:147], v[110:111], -v[124:125]
	s_delay_alu instid0(VALU_DEP_2) | instskip(SKIP_4) | instid1(VALU_DEP_2)
	v_fma_f64 v[126:127], v[112:113], v[78:79], -v[76:77]
	ds_load_b128 v[76:79], v168 offset:18816
	s_wait_dscnt 0x0
	v_mul_f64_e32 v[84:85], v[114:115], v[78:79]
	v_add_f64_e64 v[142:143], v[108:109], -v[126:127]
	v_fma_f64 v[104:105], v[112:113], v[76:77], v[84:85]
	v_mul_f64_e32 v[76:77], v[114:115], v[76:77]
	s_delay_alu instid0(VALU_DEP_1) | instskip(SKIP_3) | instid1(VALU_DEP_1)
	v_fma_f64 v[106:107], v[112:113], v[78:79], -v[76:77]
	ds_load_b128 v[76:79], v168 offset:19712
	s_wait_dscnt 0x0
	v_mul_f64_e32 v[84:85], v[114:115], v[78:79]
	v_fma_f64 v[96:97], v[112:113], v[76:77], v[84:85]
	v_mul_f64_e32 v[76:77], v[114:115], v[76:77]
	s_delay_alu instid0(VALU_DEP_1) | instskip(SKIP_3) | instid1(VALU_DEP_1)
	v_fma_f64 v[98:99], v[112:113], v[78:79], -v[76:77]
	ds_load_b128 v[76:79], v168 offset:20608
	s_wait_dscnt 0x0
	v_mul_f64_e32 v[84:85], v[114:115], v[78:79]
	v_fma_f64 v[84:85], v[112:113], v[76:77], v[84:85]
	v_mul_f64_e32 v[76:77], v[114:115], v[76:77]
	s_delay_alu instid0(VALU_DEP_1) | instskip(SKIP_3) | instid1(VALU_DEP_3)
	v_fma_f64 v[86:87], v[112:113], v[78:79], -v[76:77]
	v_mul_f64_e32 v[76:77], v[114:115], v[118:119]
	v_mul_f64_e32 v[78:79], v[114:115], v[116:117]
	v_add_f64_e64 v[114:115], v[128:129], -v[124:125]
	v_fma_f64 v[76:77], v[112:113], v[116:117], v[76:77]
	s_delay_alu instid0(VALU_DEP_3) | instskip(SKIP_2) | instid1(VALU_DEP_2)
	v_fma_f64 v[78:79], v[112:113], v[118:119], -v[78:79]
	v_add_f64_e64 v[112:113], v[132:133], -v[110:111]
	v_add_f64_e32 v[116:117], v[110:111], v[124:125]
	v_add_f64_e32 v[120:121], v[112:113], v[114:115]
	v_add_f64_e64 v[112:113], v[134:135], -v[108:109]
	v_add_f64_e64 v[114:115], v[130:131], -v[126:127]
	s_delay_alu instid0(VALU_DEP_1) | instskip(SKIP_4) | instid1(VALU_DEP_1)
	v_add_f64_e32 v[122:123], v[112:113], v[114:115]
	ds_load_b128 v[112:115], v168
	s_wait_dscnt 0x0
	v_fma_f64 v[136:137], v[116:117], -0.5, v[112:113]
	v_add_f64_e32 v[116:117], v[108:109], v[126:127]
	v_fma_f64 v[138:139], v[116:117], -0.5, v[114:115]
	s_delay_alu instid0(VALU_DEP_3) | instskip(SKIP_1) | instid1(VALU_DEP_3)
	v_fma_f64 v[116:117], v[140:141], s[14:15], v[136:137]
	v_fma_f64 v[136:137], v[140:141], s[12:13], v[136:137]
	;; [unrolled: 1-line block ×4, first 2 shown]
	s_delay_alu instid0(VALU_DEP_4) | instskip(SKIP_1) | instid1(VALU_DEP_4)
	v_fma_f64 v[116:117], v[142:143], s[2:3], v[116:117]
	s_wait_alu 0xfffe
	v_fma_f64 v[136:137], v[142:143], s[10:11], v[136:137]
	s_delay_alu instid0(VALU_DEP_4) | instskip(NEXT) | instid1(VALU_DEP_4)
	v_fma_f64 v[118:119], v[146:147], s[10:11], v[118:119]
	v_fma_f64 v[138:139], v[146:147], s[2:3], v[138:139]
	s_delay_alu instid0(VALU_DEP_4) | instskip(NEXT) | instid1(VALU_DEP_4)
	v_fma_f64 v[116:117], v[120:121], s[16:17], v[116:117]
	v_fma_f64 v[120:121], v[120:121], s[16:17], v[136:137]
	v_add_f64_e32 v[136:137], v[132:133], v[128:129]
	v_fma_f64 v[118:119], v[122:123], s[16:17], v[118:119]
	v_fma_f64 v[122:123], v[122:123], s[16:17], v[138:139]
	v_add_f64_e32 v[138:139], v[134:135], v[130:131]
	s_delay_alu instid0(VALU_DEP_4) | instskip(SKIP_1) | instid1(VALU_DEP_3)
	v_fma_f64 v[136:137], v[136:137], -0.5, v[112:113]
	v_add_f64_e32 v[112:113], v[112:113], v[110:111]
	v_fma_f64 v[138:139], v[138:139], -0.5, v[114:115]
	v_add_f64_e32 v[114:115], v[114:115], v[108:109]
	s_delay_alu instid0(VALU_DEP_3) | instskip(NEXT) | instid1(VALU_DEP_3)
	v_add_f64_e32 v[110:111], v[112:113], v[132:133]
	v_fma_f64 v[132:133], v[146:147], s[12:13], v[138:139]
	s_delay_alu instid0(VALU_DEP_3) | instskip(SKIP_1) | instid1(VALU_DEP_4)
	v_add_f64_e32 v[112:113], v[114:115], v[134:135]
	v_add_f64_e64 v[114:115], v[108:109], -v[134:135]
	v_add_f64_e32 v[108:109], v[110:111], v[128:129]
	s_delay_alu instid0(VALU_DEP_3) | instskip(SKIP_1) | instid1(VALU_DEP_3)
	v_add_f64_e32 v[110:111], v[112:113], v[130:131]
	v_add_f64_e64 v[112:113], v[124:125], -v[128:129]
	v_add_f64_e32 v[108:109], v[108:109], v[124:125]
	v_add_f64_e64 v[124:125], v[126:127], -v[130:131]
	v_fma_f64 v[128:129], v[142:143], s[14:15], v[136:137]
	v_fma_f64 v[130:131], v[146:147], s[14:15], v[138:139]
	v_add_f64_e32 v[110:111], v[110:111], v[126:127]
	v_fma_f64 v[126:127], v[142:143], s[12:13], v[136:137]
	v_add_f64_e32 v[134:135], v[148:149], v[112:113]
	v_add_f64_e32 v[136:137], v[114:115], v[124:125]
	v_fma_f64 v[124:125], v[140:141], s[10:11], v[128:129]
	v_fma_f64 v[114:115], v[144:145], s[10:11], v[130:131]
	;; [unrolled: 1-line block ×4, first 2 shown]
	s_delay_alu instid0(VALU_DEP_4) | instskip(NEXT) | instid1(VALU_DEP_4)
	v_fma_f64 v[124:125], v[134:135], s[16:17], v[124:125]
	v_fma_f64 v[114:115], v[136:137], s[16:17], v[114:115]
	s_delay_alu instid0(VALU_DEP_4) | instskip(NEXT) | instid1(VALU_DEP_4)
	v_fma_f64 v[112:113], v[134:135], s[16:17], v[112:113]
	v_fma_f64 v[126:127], v[136:137], s[16:17], v[126:127]
	ds_load_b128 v[128:131], v168 offset:3584
	ds_load_b128 v[132:135], v168 offset:896
	;; [unrolled: 1-line block ×4, first 2 shown]
	global_wb scope:SCOPE_SE
	s_wait_dscnt 0x0
	s_barrier_signal -1
	s_barrier_wait -1
	global_inv scope:SCOPE_SE
	scratch_load_b32 v144, off, off offset:624 th:TH_LOAD_LU ; 4-byte Folded Reload
	s_wait_loadcnt 0x0
	ds_store_b128 v144, v[108:111]
	ds_store_b128 v144, v[112:115] offset:128
	ds_store_b128 v144, v[116:119] offset:256
	ds_store_b128 v144, v[120:123] offset:384
	ds_store_b128 v144, v[124:127] offset:512
	v_add_f64_e64 v[108:109], v[90:91], -v[62:63]
	v_add_f64_e64 v[110:111], v[102:103], -v[104:105]
	;; [unrolled: 1-line block ×6, first 2 shown]
	v_add_f64_e32 v[112:113], v[108:109], v[110:111]
	v_add_f64_e64 v[108:109], v[88:89], -v[66:67]
	v_add_f64_e64 v[110:111], v[100:101], -v[106:107]
	s_delay_alu instid0(VALU_DEP_1) | instskip(SKIP_1) | instid1(VALU_DEP_1)
	v_add_f64_e32 v[114:115], v[108:109], v[110:111]
	v_add_f64_e32 v[108:109], v[62:63], v[104:105]
	v_fma_f64 v[116:117], v[108:109], -0.5, v[132:133]
	v_add_f64_e32 v[108:109], v[66:67], v[106:107]
	s_delay_alu instid0(VALU_DEP_1) | instskip(NEXT) | instid1(VALU_DEP_3)
	v_fma_f64 v[118:119], v[108:109], -0.5, v[134:135]
	v_fma_f64 v[108:109], v[120:121], s[14:15], v[116:117]
	v_fma_f64 v[116:117], v[120:121], s[12:13], v[116:117]
	s_delay_alu instid0(VALU_DEP_3) | instskip(SKIP_1) | instid1(VALU_DEP_4)
	v_fma_f64 v[110:111], v[124:125], s[12:13], v[118:119]
	v_fma_f64 v[118:119], v[124:125], s[14:15], v[118:119]
	;; [unrolled: 1-line block ×3, first 2 shown]
	s_delay_alu instid0(VALU_DEP_4) | instskip(NEXT) | instid1(VALU_DEP_4)
	v_fma_f64 v[116:117], v[122:123], s[10:11], v[116:117]
	v_fma_f64 v[110:111], v[126:127], s[10:11], v[110:111]
	s_delay_alu instid0(VALU_DEP_4) | instskip(NEXT) | instid1(VALU_DEP_4)
	v_fma_f64 v[118:119], v[126:127], s[2:3], v[118:119]
	v_fma_f64 v[108:109], v[112:113], s[16:17], v[108:109]
	s_delay_alu instid0(VALU_DEP_4) | instskip(SKIP_4) | instid1(VALU_DEP_4)
	v_fma_f64 v[112:113], v[112:113], s[16:17], v[116:117]
	v_add_f64_e32 v[116:117], v[90:91], v[102:103]
	v_fma_f64 v[110:111], v[114:115], s[16:17], v[110:111]
	v_fma_f64 v[114:115], v[114:115], s[16:17], v[118:119]
	v_add_f64_e32 v[118:119], v[88:89], v[100:101]
	v_fma_f64 v[116:117], v[116:117], -0.5, v[132:133]
	v_add_f64_e32 v[132:133], v[132:133], v[62:63]
	v_add_f64_e64 v[62:63], v[62:63], -v[90:91]
	s_delay_alu instid0(VALU_DEP_4) | instskip(SKIP_3) | instid1(VALU_DEP_3)
	v_fma_f64 v[118:119], v[118:119], -0.5, v[134:135]
	v_add_f64_e32 v[134:135], v[134:135], v[66:67]
	v_add_f64_e64 v[66:67], v[66:67], -v[88:89]
	v_add_f64_e32 v[90:91], v[132:133], v[90:91]
	v_add_f64_e32 v[132:133], v[134:135], v[88:89]
	s_delay_alu instid0(VALU_DEP_2) | instskip(SKIP_1) | instid1(VALU_DEP_3)
	v_add_f64_e32 v[88:89], v[90:91], v[102:103]
	v_add_f64_e64 v[102:103], v[104:105], -v[102:103]
	v_add_f64_e32 v[90:91], v[132:133], v[100:101]
	v_add_f64_e64 v[100:101], v[106:107], -v[100:101]
	s_delay_alu instid0(VALU_DEP_4)
	v_add_f64_e32 v[88:89], v[88:89], v[104:105]
	v_fma_f64 v[104:105], v[122:123], s[12:13], v[116:117]
	v_add_f64_e32 v[62:63], v[62:63], v[102:103]
	v_add_f64_e32 v[90:91], v[90:91], v[106:107]
	v_fma_f64 v[106:107], v[122:123], s[14:15], v[116:117]
	v_add_f64_e32 v[66:67], v[66:67], v[100:101]
	v_fma_f64 v[100:101], v[120:121], s[2:3], v[104:105]
	v_fma_f64 v[116:117], v[126:127], s[14:15], v[118:119]
	;; [unrolled: 1-line block ×4, first 2 shown]
	s_delay_alu instid0(VALU_DEP_4) | instskip(NEXT) | instid1(VALU_DEP_4)
	v_fma_f64 v[100:101], v[62:63], s[16:17], v[100:101]
	v_fma_f64 v[102:103], v[124:125], s[10:11], v[116:117]
	s_delay_alu instid0(VALU_DEP_4)
	v_fma_f64 v[106:107], v[124:125], s[2:3], v[118:119]
	v_add_f64_e32 v[116:117], v[140:141], v[52:53]
	v_add_f64_e32 v[118:119], v[142:143], v[42:43]
	v_fma_f64 v[104:105], v[62:63], s[16:17], v[104:105]
	scratch_load_b32 v62, off, off offset:620 th:TH_LOAD_LU ; 4-byte Folded Reload
	v_fma_f64 v[102:103], v[66:67], s[16:17], v[102:103]
	v_fma_f64 v[106:107], v[66:67], s[16:17], v[106:107]
	v_add_f64_e64 v[66:67], v[96:97], -v[94:95]
	v_add_f64_e32 v[116:117], v[116:117], v[56:57]
	s_wait_loadcnt 0x0
	ds_store_b128 v62, v[88:91]
	ds_store_b128 v62, v[100:103] offset:128
	ds_store_b128 v62, v[108:111] offset:256
	;; [unrolled: 1-line block ×4, first 2 shown]
	v_add_f64_e64 v[62:63], v[64:65], -v[74:75]
	v_add_f64_e64 v[88:89], v[98:99], -v[92:93]
	;; [unrolled: 1-line block ×6, first 2 shown]
	v_add_f64_e32 v[112:113], v[136:137], v[64:65]
	v_add_f64_e32 v[114:115], v[138:139], v[60:61]
	;; [unrolled: 1-line block ×3, first 2 shown]
	v_add_f64_e64 v[66:67], v[60:61], -v[72:73]
	s_delay_alu instid0(VALU_DEP_1) | instskip(SKIP_1) | instid1(VALU_DEP_1)
	v_add_f64_e32 v[66:67], v[66:67], v[88:89]
	v_add_f64_e32 v[88:89], v[74:75], v[94:95]
	v_fma_f64 v[100:101], v[88:89], -0.5, v[136:137]
	v_add_f64_e32 v[88:89], v[72:73], v[92:93]
	s_delay_alu instid0(VALU_DEP_1) | instskip(NEXT) | instid1(VALU_DEP_3)
	v_fma_f64 v[102:103], v[88:89], -0.5, v[138:139]
	v_fma_f64 v[88:89], v[104:105], s[12:13], v[100:101]
	v_fma_f64 v[100:101], v[104:105], s[14:15], v[100:101]
	s_delay_alu instid0(VALU_DEP_3) | instskip(SKIP_1) | instid1(VALU_DEP_4)
	v_fma_f64 v[90:91], v[108:109], s[14:15], v[102:103]
	v_fma_f64 v[102:103], v[108:109], s[12:13], v[102:103]
	;; [unrolled: 1-line block ×3, first 2 shown]
	s_delay_alu instid0(VALU_DEP_4) | instskip(NEXT) | instid1(VALU_DEP_4)
	v_fma_f64 v[100:101], v[106:107], s[10:11], v[100:101]
	v_fma_f64 v[90:91], v[110:111], s[10:11], v[90:91]
	s_delay_alu instid0(VALU_DEP_4) | instskip(NEXT) | instid1(VALU_DEP_4)
	v_fma_f64 v[102:103], v[110:111], s[2:3], v[102:103]
	v_fma_f64 v[88:89], v[62:63], s[16:17], v[88:89]
	s_delay_alu instid0(VALU_DEP_4)
	v_fma_f64 v[100:101], v[62:63], s[16:17], v[100:101]
	v_add_f64_e32 v[62:63], v[64:65], v[96:97]
	v_add_f64_e64 v[64:65], v[74:75], -v[64:65]
	v_add_f64_e32 v[74:75], v[112:113], v[74:75]
	v_add_f64_e32 v[112:113], v[114:115], v[72:73]
	v_add_f64_e64 v[72:73], v[72:73], -v[60:61]
	v_fma_f64 v[90:91], v[66:67], s[16:17], v[90:91]
	v_fma_f64 v[102:103], v[66:67], s[16:17], v[102:103]
	v_add_f64_e32 v[66:67], v[60:61], v[98:99]
	v_fma_f64 v[62:63], v[62:63], -0.5, v[136:137]
	v_add_f64_e32 v[60:61], v[74:75], v[94:95]
	v_add_f64_e64 v[74:75], v[94:95], -v[96:97]
	s_delay_alu instid0(VALU_DEP_4) | instskip(NEXT) | instid1(VALU_DEP_4)
	v_fma_f64 v[66:67], v[66:67], -0.5, v[138:139]
	v_fma_f64 v[114:115], v[106:107], s[14:15], v[62:63]
	v_fma_f64 v[106:107], v[106:107], s[12:13], v[62:63]
	v_add_f64_e32 v[62:63], v[112:113], v[92:93]
	v_add_f64_e64 v[92:93], v[92:93], -v[98:99]
	v_add_f64_e32 v[60:61], v[60:61], v[96:97]
	v_add_f64_e32 v[74:75], v[64:65], v[74:75]
	v_add_f64_e64 v[112:113], v[52:53], -v[84:85]
	v_fma_f64 v[94:95], v[110:111], s[12:13], v[66:67]
	v_fma_f64 v[66:67], v[110:111], s[14:15], v[66:67]
	;; [unrolled: 1-line block ×4, first 2 shown]
	v_add_f64_e32 v[62:63], v[62:63], v[98:99]
	v_add_f64_e32 v[92:93], v[72:73], v[92:93]
	v_add_f64_e64 v[110:111], v[54:55], -v[80:81]
	v_add_f64_e64 v[114:115], v[56:57], -v[82:83]
	v_fma_f64 v[72:73], v[108:109], s[10:11], v[94:95]
	v_fma_f64 v[94:95], v[108:109], s[2:3], v[66:67]
	;; [unrolled: 1-line block ×3, first 2 shown]
	v_add_f64_e64 v[108:109], v[42:43], -v[86:87]
	s_delay_alu instid0(VALU_DEP_4) | instskip(SKIP_4) | instid1(VALU_DEP_1)
	v_fma_f64 v[66:67], v[92:93], s[16:17], v[72:73]
	v_fma_f64 v[72:73], v[74:75], s[16:17], v[96:97]
	;; [unrolled: 1-line block ×3, first 2 shown]
	v_add_f64_e64 v[92:93], v[52:53], -v[56:57]
	v_add_f64_e64 v[94:95], v[84:85], -v[82:83]
	v_add_f64_e32 v[96:97], v[92:93], v[94:95]
	v_add_f64_e64 v[92:93], v[42:43], -v[54:55]
	v_add_f64_e64 v[94:95], v[86:87], -v[80:81]
	s_delay_alu instid0(VALU_DEP_1) | instskip(SKIP_1) | instid1(VALU_DEP_1)
	v_add_f64_e32 v[98:99], v[92:93], v[94:95]
	v_add_f64_e32 v[92:93], v[56:57], v[82:83]
	v_fma_f64 v[104:105], v[92:93], -0.5, v[140:141]
	v_add_f64_e32 v[92:93], v[54:55], v[80:81]
	s_delay_alu instid0(VALU_DEP_1) | instskip(NEXT) | instid1(VALU_DEP_3)
	v_fma_f64 v[106:107], v[92:93], -0.5, v[142:143]
	v_fma_f64 v[92:93], v[108:109], s[12:13], v[104:105]
	v_fma_f64 v[104:105], v[108:109], s[14:15], v[104:105]
	s_delay_alu instid0(VALU_DEP_3) | instskip(NEXT) | instid1(VALU_DEP_3)
	v_fma_f64 v[94:95], v[112:113], s[14:15], v[106:107]
	v_fma_f64 v[92:93], v[110:111], s[2:3], v[92:93]
	s_delay_alu instid0(VALU_DEP_3) | instskip(SKIP_1) | instid1(VALU_DEP_4)
	v_fma_f64 v[104:105], v[110:111], s[10:11], v[104:105]
	v_fma_f64 v[106:107], v[112:113], s[12:13], v[106:107]
	;; [unrolled: 1-line block ×3, first 2 shown]
	s_delay_alu instid0(VALU_DEP_4) | instskip(NEXT) | instid1(VALU_DEP_4)
	v_fma_f64 v[92:93], v[96:97], s[16:17], v[92:93]
	v_fma_f64 v[96:97], v[96:97], s[16:17], v[104:105]
	v_add_f64_e32 v[104:105], v[52:53], v[84:85]
	v_fma_f64 v[106:107], v[114:115], s[2:3], v[106:107]
	v_add_f64_e64 v[52:53], v[56:57], -v[52:53]
	v_fma_f64 v[94:95], v[98:99], s[16:17], v[94:95]
	s_delay_alu instid0(VALU_DEP_4) | instskip(NEXT) | instid1(VALU_DEP_4)
	v_fma_f64 v[104:105], v[104:105], -0.5, v[140:141]
	v_fma_f64 v[98:99], v[98:99], s[16:17], v[106:107]
	v_add_f64_e32 v[106:107], v[42:43], v[86:87]
	v_add_f64_e64 v[42:43], v[54:55], -v[42:43]
	s_delay_alu instid0(VALU_DEP_4)
	v_fma_f64 v[56:57], v[110:111], s[14:15], v[104:105]
	v_fma_f64 v[104:105], v[110:111], s[12:13], v[104:105]
	v_add_f64_e32 v[110:111], v[118:119], v[54:55]
	v_fma_f64 v[106:107], v[106:107], -0.5, v[142:143]
	v_add_f64_e32 v[54:55], v[116:117], v[82:83]
	v_add_f64_e64 v[116:117], v[82:83], -v[84:85]
	v_add_f64_e64 v[118:119], v[36:37], -v[76:77]
	v_fma_f64 v[56:57], v[108:109], s[2:3], v[56:57]
	v_fma_f64 v[108:109], v[108:109], s[10:11], v[104:105]
	v_add_f64_e32 v[110:111], v[110:111], v[80:81]
	v_add_f64_e32 v[82:83], v[54:55], v[84:85]
	v_add_f64_e64 v[54:55], v[80:81], -v[86:87]
	v_fma_f64 v[80:81], v[114:115], s[12:13], v[106:107]
	v_add_f64_e32 v[52:53], v[52:53], v[116:117]
	v_add_f64_e64 v[116:117], v[40:41], -v[70:71]
	v_add_f64_e32 v[84:85], v[110:111], v[86:87]
	v_fma_f64 v[86:87], v[114:115], s[14:15], v[106:107]
	v_add_f64_e32 v[42:43], v[42:43], v[54:55]
	v_fma_f64 v[54:55], v[112:113], s[10:11], v[80:81]
	v_fma_f64 v[104:105], v[52:53], s[16:17], v[56:57]
	v_fma_f64 v[108:109], v[52:53], s[16:17], v[108:109]
	v_add_f64_e64 v[52:53], v[70:71], -v[76:77]
	v_add_f64_e32 v[56:57], v[38:39], v[78:79]
	v_fma_f64 v[80:81], v[112:113], s[2:3], v[86:87]
	v_add_f64_e64 v[86:87], v[38:39], -v[78:79]
	v_fma_f64 v[106:107], v[42:43], s[16:17], v[54:55]
	v_add_f64_e64 v[54:55], v[68:69], -v[78:79]
	v_fma_f64 v[56:57], v[56:57], -0.5, v[130:131]
	v_fma_f64 v[110:111], v[42:43], s[16:17], v[80:81]
	v_add_f64_e64 v[42:43], v[40:41], -v[36:37]
	v_add_f64_e64 v[80:81], v[58:59], -v[68:69]
	s_delay_alu instid0(VALU_DEP_4) | instskip(SKIP_1) | instid1(VALU_DEP_4)
	v_fma_f64 v[114:115], v[116:117], s[12:13], v[56:57]
	v_fma_f64 v[56:57], v[116:117], s[14:15], v[56:57]
	v_add_f64_e32 v[42:43], v[42:43], v[52:53]
	v_add_f64_e64 v[52:53], v[58:59], -v[38:39]
	s_delay_alu instid0(VALU_DEP_4) | instskip(NEXT) | instid1(VALU_DEP_4)
	v_fma_f64 v[114:115], v[118:119], s[10:11], v[114:115]
	v_fma_f64 v[56:57], v[118:119], s[2:3], v[56:57]
	s_delay_alu instid0(VALU_DEP_3) | instskip(SKIP_1) | instid1(VALU_DEP_2)
	v_add_f64_e32 v[52:53], v[52:53], v[54:55]
	v_add_f64_e32 v[54:55], v[36:37], v[76:77]
	v_fma_f64 v[126:127], v[52:53], s[16:17], v[56:57]
	s_delay_alu instid0(VALU_DEP_2) | instskip(SKIP_3) | instid1(VALU_DEP_4)
	v_fma_f64 v[54:55], v[54:55], -0.5, v[128:129]
	v_add_f64_e32 v[56:57], v[130:131], v[38:39]
	v_fma_f64 v[114:115], v[52:53], s[16:17], v[114:115]
	v_add_f64_e32 v[52:53], v[58:59], v[68:69]
	v_fma_f64 v[112:113], v[80:81], s[14:15], v[54:55]
	v_fma_f64 v[54:55], v[80:81], s[12:13], v[54:55]
	s_delay_alu instid0(VALU_DEP_3) | instskip(NEXT) | instid1(VALU_DEP_3)
	v_fma_f64 v[52:53], v[52:53], -0.5, v[130:131]
	v_fma_f64 v[112:113], v[86:87], s[2:3], v[112:113]
	s_delay_alu instid0(VALU_DEP_3) | instskip(NEXT) | instid1(VALU_DEP_2)
	v_fma_f64 v[54:55], v[86:87], s[10:11], v[54:55]
	v_fma_f64 v[112:113], v[42:43], s[16:17], v[112:113]
	s_delay_alu instid0(VALU_DEP_2) | instskip(SKIP_2) | instid1(VALU_DEP_2)
	v_fma_f64 v[124:125], v[42:43], s[16:17], v[54:55]
	v_add_f64_e32 v[42:43], v[40:41], v[70:71]
	v_add_f64_e32 v[54:55], v[128:129], v[36:37]
	v_fma_f64 v[42:43], v[42:43], -0.5, v[128:129]
	s_delay_alu instid0(VALU_DEP_2)
	v_add_f64_e32 v[54:55], v[54:55], v[40:41]
	v_add_f64_e64 v[40:41], v[36:37], -v[40:41]
	v_add_f64_e32 v[36:37], v[56:57], v[58:59]
	v_add_f64_e64 v[56:57], v[38:39], -v[58:59]
	v_add_f64_e64 v[58:59], v[76:77], -v[70:71]
	v_fma_f64 v[120:121], v[86:87], s[12:13], v[42:43]
	v_fma_f64 v[42:43], v[86:87], s[14:15], v[42:43]
	v_add_f64_e32 v[38:39], v[54:55], v[70:71]
	v_add_f64_e32 v[54:55], v[36:37], v[68:69]
	;; [unrolled: 1-line block ×3, first 2 shown]
	v_fma_f64 v[58:59], v[80:81], s[2:3], v[120:121]
	v_fma_f64 v[42:43], v[80:81], s[10:11], v[42:43]
	v_add_f64_e32 v[36:37], v[38:39], v[76:77]
	v_add_f64_e32 v[38:39], v[54:55], v[78:79]
	v_add_f64_e64 v[54:55], v[78:79], -v[68:69]
	v_fma_f64 v[68:69], v[118:119], s[14:15], v[52:53]
	v_fma_f64 v[52:53], v[118:119], s[12:13], v[52:53]
	;; [unrolled: 1-line block ×3, first 2 shown]
	s_delay_alu instid0(VALU_DEP_4) | instskip(NEXT) | instid1(VALU_DEP_4)
	v_add_f64_e32 v[56:57], v[56:57], v[54:55]
	v_fma_f64 v[54:55], v[116:117], s[10:11], v[68:69]
	s_delay_alu instid0(VALU_DEP_4)
	v_fma_f64 v[68:69], v[116:117], s[2:3], v[52:53]
	v_fma_f64 v[52:53], v[40:41], s[16:17], v[58:59]
	scratch_load_b32 v40, off, off offset:596 th:TH_LOAD_LU ; 4-byte Folded Reload
	s_wait_loadcnt 0x0
	ds_store_b128 v40, v[60:63]
	ds_store_b128 v40, v[88:91] offset:128
	ds_store_b128 v40, v[64:67] offset:256
	;; [unrolled: 1-line block ×4, first 2 shown]
	scratch_load_b32 v40, off, off offset:592 th:TH_LOAD_LU ; 4-byte Folded Reload
	v_fma_f64 v[54:55], v[56:57], s[16:17], v[54:55]
	v_fma_f64 v[130:131], v[56:57], s[16:17], v[68:69]
	s_wait_loadcnt 0x0
	ds_store_b128 v40, v[82:85]
	ds_store_b128 v40, v[92:95] offset:128
	ds_store_b128 v40, v[104:107] offset:256
	;; [unrolled: 1-line block ×4, first 2 shown]
	scratch_load_b32 v40, off, off offset:600 th:TH_LOAD_LU ; 4-byte Folded Reload
	s_wait_loadcnt 0x0
	ds_store_b128 v40, v[36:39]
	ds_store_b128 v40, v[52:55] offset:128
	ds_store_b128 v40, v[112:115] offset:256
	;; [unrolled: 1-line block ×4, first 2 shown]
	global_wb scope:SCOPE_SE
	s_wait_dscnt 0x0
	s_barrier_signal -1
	s_barrier_wait -1
	global_inv scope:SCOPE_SE
	ds_load_b128 v[64:67], v168
	ds_load_b128 v[60:63], v168 offset:896
	ds_load_b128 v[132:135], v168 offset:6400
	;; [unrolled: 1-line block ×20, first 2 shown]
	s_and_saveexec_b32 s1, s0
	s_cbranch_execz .LBB0_35
; %bb.34:
	ds_load_b128 v[52:55], v168 offset:2688
	ds_load_b128 v[112:115], v168 offset:5888
	;; [unrolled: 1-line block ×6, first 2 shown]
	s_wait_dscnt 0x0
	scratch_store_b128 off, v[144:147], off offset:12 ; 16-byte Folded Spill
	ds_load_b128 v[144:147], v168 offset:21888
	s_wait_dscnt 0x0
	scratch_store_b128 off, v[144:147], off offset:28 ; 16-byte Folded Spill
.LBB0_35:
	s_wait_alu 0xfffe
	s_or_b32 exec_lo, exec_lo, s1
	scratch_load_b128 v[146:149], off, off offset:604 th:TH_LOAD_LU ; 16-byte Folded Reload
	s_mov_b32 s16, 0xe976ee23
	s_mov_b32 s17, 0x3fe11646
	;; [unrolled: 1-line block ×18, first 2 shown]
	s_wait_alu 0xfffe
	s_mov_b32 s24, s22
	s_mov_b32 s20, s2
	s_wait_loadcnt_dscnt 0xc
	v_mul_f64_e32 v[144:145], v[148:149], v[138:139]
	s_delay_alu instid0(VALU_DEP_1) | instskip(SKIP_1) | instid1(VALU_DEP_1)
	v_fma_f64 v[144:145], v[146:147], v[136:137], v[144:145]
	v_mul_f64_e32 v[136:137], v[148:149], v[136:137]
	v_fma_f64 v[136:137], v[146:147], v[138:139], -v[136:137]
	scratch_load_b128 v[146:149], off, off offset:676 th:TH_LOAD_LU ; 16-byte Folded Reload
	s_wait_loadcnt 0x0
	v_mul_f64_e32 v[138:139], v[148:149], v[134:135]
	s_delay_alu instid0(VALU_DEP_1)
	v_fma_f64 v[138:139], v[146:147], v[132:133], v[138:139]
	v_mul_f64_e32 v[132:133], v[148:149], v[132:133]
	scratch_load_b128 v[148:151], off, off offset:692 th:TH_LOAD_LU ; 16-byte Folded Reload
	v_fma_f64 v[134:135], v[146:147], v[134:135], -v[132:133]
	s_wait_loadcnt_dscnt 0x4
	v_mul_f64_e32 v[132:133], v[150:151], v[142:143]
	s_delay_alu instid0(VALU_DEP_1) | instskip(SKIP_1) | instid1(VALU_DEP_1)
	v_fma_f64 v[146:147], v[148:149], v[140:141], v[132:133]
	v_mul_f64_e32 v[132:133], v[150:151], v[140:141]
	v_fma_f64 v[140:141], v[148:149], v[142:143], -v[132:133]
	scratch_load_b128 v[148:151], off, off offset:708 th:TH_LOAD_LU ; 16-byte Folded Reload
	v_add_f64_e32 v[154:155], v[134:135], v[140:141]
	s_wait_loadcnt 0x0
	v_mul_f64_e32 v[132:133], v[150:151], v[118:119]
	s_delay_alu instid0(VALU_DEP_1)
	v_fma_f64 v[142:143], v[148:149], v[116:117], v[132:133]
	v_mul_f64_e32 v[116:117], v[150:151], v[116:117]
	scratch_load_b128 v[150:153], off, off offset:788 th:TH_LOAD_LU ; 16-byte Folded Reload
	v_fma_f64 v[148:149], v[148:149], v[118:119], -v[116:117]
	s_wait_loadcnt 0x0
	v_mul_f64_e32 v[116:117], v[152:153], v[122:123]
	v_mul_f64_e32 v[118:119], v[152:153], v[120:121]
	s_delay_alu instid0(VALU_DEP_2) | instskip(NEXT) | instid1(VALU_DEP_2)
	v_fma_f64 v[116:117], v[150:151], v[120:121], v[116:117]
	v_fma_f64 v[118:119], v[150:151], v[122:123], -v[118:119]
	scratch_load_b128 v[150:153], off, off offset:804 th:TH_LOAD_LU ; 16-byte Folded Reload
	s_wait_loadcnt 0x0
	v_mul_f64_e32 v[120:121], v[152:153], v[102:103]
	s_delay_alu instid0(VALU_DEP_1) | instskip(SKIP_1) | instid1(VALU_DEP_1)
	v_fma_f64 v[120:121], v[150:151], v[100:101], v[120:121]
	v_mul_f64_e32 v[100:101], v[152:153], v[100:101]
	v_fma_f64 v[122:123], v[150:151], v[102:103], -v[100:101]
	scratch_load_b128 v[150:153], off, off offset:772 th:TH_LOAD_LU ; 16-byte Folded Reload
	v_mul_f64_e32 v[100:101], v[202:203], v[106:107]
	s_delay_alu instid0(VALU_DEP_1) | instskip(SKIP_1) | instid1(VALU_DEP_1)
	v_fma_f64 v[132:133], v[200:201], v[104:105], v[100:101]
	v_mul_f64_e32 v[100:101], v[202:203], v[104:105]
	v_fma_f64 v[104:105], v[200:201], v[106:107], -v[100:101]
	s_wait_loadcnt_dscnt 0x2
	v_mul_f64_e32 v[100:101], v[152:153], v[110:111]
	s_delay_alu instid0(VALU_DEP_1) | instskip(SKIP_1) | instid1(VALU_DEP_1)
	v_fma_f64 v[106:107], v[150:151], v[108:109], v[100:101]
	v_mul_f64_e32 v[100:101], v[152:153], v[108:109]
	v_fma_f64 v[108:109], v[150:151], v[110:111], -v[100:101]
	scratch_load_b128 v[150:153], off, off offset:660 th:TH_LOAD_LU ; 16-byte Folded Reload
	v_mul_f64_e32 v[100:101], v[206:207], v[94:95]
	s_delay_alu instid0(VALU_DEP_1) | instskip(SKIP_1) | instid1(VALU_DEP_1)
	v_fma_f64 v[100:101], v[204:205], v[92:93], v[100:101]
	v_mul_f64_e32 v[92:93], v[206:207], v[92:93]
	v_fma_f64 v[92:93], v[204:205], v[94:95], -v[92:93]
	v_mul_f64_e32 v[94:95], v[210:211], v[90:91]
	s_delay_alu instid0(VALU_DEP_1) | instskip(SKIP_1) | instid1(VALU_DEP_1)
	v_fma_f64 v[94:95], v[208:209], v[88:89], v[94:95]
	v_mul_f64_e32 v[88:89], v[210:211], v[88:89]
	v_fma_f64 v[88:89], v[208:209], v[90:91], -v[88:89]
	s_wait_dscnt 0x0
	v_mul_f64_e32 v[90:91], v[214:215], v[98:99]
	s_delay_alu instid0(VALU_DEP_1) | instskip(SKIP_2) | instid1(VALU_DEP_2)
	v_fma_f64 v[102:103], v[212:213], v[96:97], v[90:91]
	v_mul_f64_e32 v[90:91], v[214:215], v[96:97]
	v_mul_f64_e32 v[96:97], v[198:199], v[86:87]
	v_fma_f64 v[90:91], v[212:213], v[98:99], -v[90:91]
	s_delay_alu instid0(VALU_DEP_2) | instskip(SKIP_3) | instid1(VALU_DEP_3)
	v_fma_f64 v[96:97], v[196:197], v[84:85], v[96:97]
	v_mul_f64_e32 v[84:85], v[198:199], v[84:85]
	v_add_f64_e32 v[98:99], v[138:139], v[146:147]
	v_add_f64_e64 v[138:139], v[138:139], -v[146:147]
	v_fma_f64 v[84:85], v[196:197], v[86:87], -v[84:85]
	s_wait_loadcnt 0x0
	v_mul_f64_e32 v[86:87], v[152:153], v[82:83]
	s_delay_alu instid0(VALU_DEP_1) | instskip(SKIP_1) | instid1(VALU_DEP_1)
	v_fma_f64 v[86:87], v[150:151], v[80:81], v[86:87]
	v_mul_f64_e32 v[80:81], v[152:153], v[80:81]
	v_fma_f64 v[80:81], v[150:151], v[82:83], -v[80:81]
	scratch_load_b128 v[150:153], off, off offset:724 th:TH_LOAD_LU ; 16-byte Folded Reload
	s_wait_loadcnt 0x0
	v_mul_f64_e32 v[82:83], v[152:153], v[78:79]
	s_delay_alu instid0(VALU_DEP_1) | instskip(SKIP_1) | instid1(VALU_DEP_2)
	v_fma_f64 v[82:83], v[150:151], v[76:77], v[82:83]
	v_mul_f64_e32 v[76:77], v[152:153], v[76:77]
	v_add_f64_e32 v[110:111], v[86:87], v[82:83]
	s_delay_alu instid0(VALU_DEP_2)
	v_fma_f64 v[78:79], v[150:151], v[78:79], -v[76:77]
	scratch_load_b128 v[150:153], off, off offset:740 th:TH_LOAD_LU ; 16-byte Folded Reload
	v_add_f64_e64 v[82:83], v[82:83], -v[86:87]
	v_add_f64_e64 v[86:87], v[134:135], -v[140:141]
	v_add_f64_e64 v[140:141], v[144:145], -v[142:143]
	v_add_f64_e32 v[156:157], v[80:81], v[78:79]
	s_wait_loadcnt 0x0
	v_mul_f64_e32 v[76:77], v[152:153], v[74:75]
	s_delay_alu instid0(VALU_DEP_1) | instskip(SKIP_1) | instid1(VALU_DEP_1)
	v_fma_f64 v[76:77], v[150:151], v[72:73], v[76:77]
	v_mul_f64_e32 v[72:73], v[152:153], v[72:73]
	v_fma_f64 v[72:73], v[150:151], v[74:75], -v[72:73]
	scratch_load_b128 v[150:153], off, off offset:756 th:TH_LOAD_LU ; 16-byte Folded Reload
	s_wait_loadcnt 0x0
	v_mul_f64_e32 v[74:75], v[152:153], v[70:71]
	s_delay_alu instid0(VALU_DEP_1) | instskip(SKIP_1) | instid1(VALU_DEP_1)
	v_fma_f64 v[74:75], v[150:151], v[68:69], v[74:75]
	v_mul_f64_e32 v[68:69], v[152:153], v[68:69]
	v_fma_f64 v[68:69], v[150:151], v[70:71], -v[68:69]
	scratch_load_b128 v[150:153], off, off offset:628 th:TH_LOAD_LU ; 16-byte Folded Reload
	;; [unrolled: 7-line block ×3, first 2 shown]
	global_wb scope:SCOPE_SE
	s_wait_loadcnt 0x0
	s_wait_storecnt 0x0
	s_barrier_signal -1
	s_barrier_wait -1
	global_inv scope:SCOPE_SE
	v_mul_f64_e32 v[42:43], v[152:153], v[38:39]
	s_delay_alu instid0(VALU_DEP_1) | instskip(SKIP_2) | instid1(VALU_DEP_2)
	v_fma_f64 v[42:43], v[150:151], v[36:37], v[42:43]
	v_mul_f64_e32 v[36:37], v[152:153], v[36:37]
	v_add_f64_e32 v[152:153], v[136:137], v[148:149]
	v_fma_f64 v[36:37], v[150:151], v[38:39], -v[36:37]
	v_add_f64_e32 v[38:39], v[144:145], v[142:143]
	v_add_f64_e64 v[142:143], v[78:79], -v[80:81]
	v_add_f64_e64 v[80:81], v[82:83], -v[138:139]
	;; [unrolled: 1-line block ×3, first 2 shown]
	v_add_f64_e32 v[78:79], v[82:83], v[138:139]
	v_add_f64_e64 v[138:139], v[138:139], -v[140:141]
	v_add_f64_e32 v[158:159], v[154:155], v[152:153]
	v_add_f64_e64 v[148:149], v[154:155], -v[152:153]
	v_add_f64_e64 v[154:155], v[156:157], -v[154:155]
	;; [unrolled: 1-line block ×3, first 2 shown]
	v_add_f64_e32 v[150:151], v[98:99], v[38:39]
	v_add_f64_e64 v[134:135], v[142:143], -v[86:87]
	v_mul_f64_e32 v[160:161], s[16:17], v[80:81]
	v_add_f64_e64 v[146:147], v[98:99], -v[38:39]
	v_add_f64_e32 v[136:137], v[142:143], v[86:87]
	v_add_f64_e64 v[86:87], v[86:87], -v[144:145]
	v_add_f64_e32 v[164:165], v[78:79], v[140:141]
	;; [unrolled: 2-line block ×3, first 2 shown]
	v_add_f64_e64 v[98:99], v[110:111], -v[98:99]
	v_mul_f64_e32 v[80:81], s[14:15], v[154:155]
	v_add_f64_e32 v[150:151], v[110:111], v[150:151]
	v_mul_f64_e32 v[162:163], s[16:17], v[134:135]
	v_fma_f64 v[134:135], v[138:139], s[10:11], -v[160:161]
	v_add_f64_e64 v[110:111], v[152:153], -v[156:157]
	v_add_f64_e32 v[166:167], v[136:137], v[144:145]
	v_add_f64_e64 v[152:153], v[144:145], -v[142:143]
	v_mul_f64_e32 v[138:139], s[10:11], v[138:139]
	v_mul_f64_e32 v[38:39], s[26:27], v[38:39]
	v_add_f64_e32 v[66:67], v[66:67], v[158:159]
	v_mul_f64_e32 v[78:79], s[14:15], v[98:99]
	v_fma_f64 v[80:81], v[148:149], s[2:3], -v[80:81]
	v_add_f64_e32 v[64:65], v[64:65], v[150:151]
	v_fma_f64 v[136:137], v[164:165], s[18:19], v[134:135]
	v_fma_f64 v[134:135], v[86:87], s[10:11], -v[162:163]
	v_mul_f64_e32 v[86:87], s[10:11], v[86:87]
	v_mul_f64_e32 v[110:111], s[26:27], v[110:111]
	s_wait_alu 0xfffe
	v_fma_f64 v[138:139], v[82:83], s[24:25], -v[138:139]
	v_fma_f64 v[140:141], v[146:147], s[20:21], -v[38:39]
	v_fma_f64 v[158:159], v[158:159], s[12:13], v[66:67]
	v_fma_f64 v[78:79], v[146:147], s[2:3], -v[78:79]
	v_fma_f64 v[38:39], v[98:99], s[14:15], v[38:39]
	v_fma_f64 v[82:83], v[82:83], s[22:23], v[160:161]
	;; [unrolled: 1-line block ×4, first 2 shown]
	v_fma_f64 v[86:87], v[152:153], s[24:25], -v[86:87]
	v_fma_f64 v[142:143], v[148:149], s[20:21], -v[110:111]
	v_fma_f64 v[144:145], v[164:165], s[18:19], v[138:139]
	v_fma_f64 v[98:99], v[154:155], s[14:15], v[110:111]
	v_add_f64_e32 v[171:172], v[80:81], v[158:159]
	v_fma_f64 v[82:83], v[164:165], s[18:19], v[82:83]
	v_add_f64_e32 v[146:147], v[140:141], v[150:151]
	v_add_f64_e32 v[38:39], v[38:39], v[150:151]
	;; [unrolled: 1-line block ×3, first 2 shown]
	v_fma_f64 v[86:87], v[166:167], s[18:19], v[86:87]
	v_add_f64_e32 v[148:149], v[142:143], v[158:159]
	v_add_f64_e32 v[98:99], v[98:99], v[158:159]
	;; [unrolled: 1-line block ×3, first 2 shown]
	v_add_f64_e64 v[136:137], v[171:172], -v[136:137]
	v_add_f64_e64 v[78:79], v[169:170], -v[134:135]
	v_add_f64_e32 v[134:135], v[134:135], v[169:170]
	v_add_f64_e32 v[138:139], v[86:87], v[146:147]
	v_add_f64_e64 v[142:143], v[146:147], -v[86:87]
	v_fma_f64 v[86:87], v[152:153], s[22:23], v[162:163]
	v_add_f64_e64 v[140:141], v[148:149], -v[144:145]
	v_add_f64_e32 v[144:145], v[144:145], v[148:149]
	v_add_f64_e64 v[148:149], v[98:99], -v[82:83]
	v_add_f64_e32 v[152:153], v[82:83], v[98:99]
	v_add_f64_e32 v[82:83], v[122:123], v[108:109]
	v_fma_f64 v[86:87], v[166:167], s[18:19], v[86:87]
	s_delay_alu instid0(VALU_DEP_1)
	v_add_f64_e32 v[146:147], v[86:87], v[38:39]
	v_add_f64_e64 v[150:151], v[38:39], -v[86:87]
	scratch_load_b32 v38, off, off offset:820 th:TH_LOAD_LU ; 4-byte Folded Reload
	v_add_f64_e32 v[86:87], v[72:73], v[68:69]
	v_add_f64_e64 v[68:69], v[68:69], -v[72:73]
	s_wait_loadcnt 0x0
	ds_store_b128 v38, v[64:67]
	ds_store_b128 v38, v[146:149] offset:640
	ds_store_b128 v38, v[138:141] offset:1280
	ds_store_b128 v38, v[78:81] offset:1920
	ds_store_b128 v38, v[134:137] offset:2560
	ds_store_b128 v38, v[142:145] offset:3200
	ds_store_b128 v38, v[150:153] offset:3840
	v_add_f64_e32 v[134:135], v[100:101], v[102:103]
	v_add_f64_e32 v[136:137], v[94:95], v[96:97]
	;; [unrolled: 1-line block ×10, first 2 shown]
	v_add_f64_e64 v[106:107], v[120:121], -v[106:107]
	v_add_f64_e64 v[76:77], v[74:75], -v[76:77]
	;; [unrolled: 1-line block ×6, first 2 shown]
	v_add_f64_e32 v[110:111], v[136:137], v[134:135]
	v_add_f64_e32 v[66:67], v[64:65], v[38:39]
	;; [unrolled: 1-line block ×3, first 2 shown]
	v_add_f64_e64 v[118:119], v[82:83], -v[80:81]
	v_add_f64_e64 v[116:117], v[78:79], -v[64:65]
	;; [unrolled: 1-line block ×3, first 2 shown]
	v_add_f64_e32 v[122:123], v[68:69], v[74:75]
	v_add_f64_e64 v[82:83], v[106:107], -v[108:109]
	v_add_f64_e64 v[132:133], v[74:75], -v[104:105]
	v_add_f64_e32 v[140:141], v[138:139], v[110:111]
	v_add_f64_e32 v[110:111], v[144:145], v[142:143]
	;; [unrolled: 1-line block ×4, first 2 shown]
	v_mul_f64_e32 v[150:151], s[16:17], v[72:73]
	v_add_f64_e32 v[122:123], v[122:123], v[104:105]
	v_mul_f64_e32 v[72:73], s[14:15], v[120:121]
	v_add_f64_e32 v[56:57], v[56:57], v[140:141]
	v_add_f64_e32 v[148:149], v[146:147], v[110:111]
	v_add_f64_e64 v[110:111], v[64:65], -v[38:39]
	v_add_f64_e32 v[64:65], v[76:77], v[106:107]
	v_add_f64_e64 v[106:107], v[68:69], -v[74:75]
	v_add_f64_e64 v[38:39], v[38:39], -v[78:79]
	;; [unrolled: 1-line block ×3, first 2 shown]
	v_add_f64_e32 v[60:61], v[60:61], v[66:67]
	v_add_f64_e32 v[62:63], v[62:63], v[98:99]
	v_add_f64_e64 v[86:87], v[108:109], -v[76:77]
	v_add_f64_e64 v[68:69], v[104:105], -v[68:69]
	v_mul_f64_e32 v[76:77], s[10:11], v[82:83]
	v_mul_f64_e32 v[80:81], s[10:11], v[132:133]
	v_fma_f64 v[72:73], v[118:119], s[2:3], -v[72:73]
	v_add_f64_e32 v[58:59], v[58:59], v[148:149]
	v_add_f64_e32 v[152:153], v[64:65], v[108:109]
	v_mul_f64_e32 v[106:107], s[16:17], v[106:107]
	v_mul_f64_e32 v[38:39], s[26:27], v[38:39]
	;; [unrolled: 1-line block ×3, first 2 shown]
	v_fma_f64 v[154:155], v[66:67], s[12:13], v[60:61]
	v_fma_f64 v[98:99], v[98:99], s[12:13], v[62:63]
	v_fma_f64 v[66:67], v[82:83], s[10:11], -v[150:151]
	v_mul_f64_e32 v[64:65], s[14:15], v[116:117]
	v_fma_f64 v[76:77], v[86:87], s[24:25], -v[76:77]
	v_fma_f64 v[78:79], v[68:69], s[24:25], -v[80:81]
	v_fma_f64 v[86:87], v[86:87], s[22:23], v[150:151]
	v_fma_f64 v[68:69], v[68:69], s[22:23], v[106:107]
	v_fma_f64 v[80:81], v[110:111], s[20:21], -v[38:39]
	v_fma_f64 v[82:83], v[118:119], s[20:21], -v[104:105]
	v_fma_f64 v[38:39], v[116:117], s[14:15], v[38:39]
	v_fma_f64 v[104:105], v[120:121], s[14:15], v[104:105]
	v_add_f64_e32 v[160:161], v[72:73], v[98:99]
	v_fma_f64 v[64:65], v[110:111], s[2:3], -v[64:65]
	v_fma_f64 v[108:109], v[152:153], s[18:19], v[76:77]
	v_fma_f64 v[110:111], v[122:123], s[18:19], v[78:79]
	;; [unrolled: 1-line block ×4, first 2 shown]
	v_fma_f64 v[66:67], v[132:133], s[10:11], -v[106:107]
	v_fma_f64 v[120:121], v[140:141], s[12:13], v[56:57]
	v_fma_f64 v[68:69], v[122:123], s[18:19], v[68:69]
	v_add_f64_e32 v[80:81], v[80:81], v[154:155]
	v_add_f64_e32 v[82:83], v[82:83], v[98:99]
	v_add_f64_e32 v[38:39], v[38:39], v[154:155]
	v_add_f64_e32 v[98:99], v[104:105], v[98:99]
	v_add_f64_e32 v[158:159], v[64:65], v[154:155]
	v_fma_f64 v[156:157], v[122:123], s[18:19], v[66:67]
	v_add_f64_e32 v[66:67], v[74:75], v[160:161]
	v_add_f64_e64 v[74:75], v[160:161], -v[74:75]
	v_fma_f64 v[122:123], v[148:149], s[12:13], v[58:59]
	v_add_f64_e32 v[76:77], v[110:111], v[80:81]
	v_add_f64_e64 v[78:79], v[82:83], -v[108:109]
	v_add_f64_e32 v[82:83], v[108:109], v[82:83]
	v_add_f64_e32 v[104:105], v[68:69], v[38:39]
	v_add_f64_e64 v[108:109], v[38:39], -v[68:69]
	v_add_f64_e64 v[38:39], v[94:95], -v[96:97]
	;; [unrolled: 1-line block ×8, first 2 shown]
	v_add_f64_e32 v[110:111], v[86:87], v[98:99]
	v_add_f64_e64 v[86:87], v[92:93], -v[90:91]
	v_add_f64_e64 v[90:91], v[138:139], -v[136:137]
	;; [unrolled: 1-line block ×5, first 2 shown]
	v_add_f64_e32 v[72:73], v[156:157], v[158:159]
	v_add_f64_e64 v[92:93], v[144:145], -v[142:143]
	ds_store_b128 v195, v[60:63]
	ds_store_b128 v195, v[104:107] offset:640
	ds_store_b128 v195, v[76:79] offset:1280
	;; [unrolled: 1-line block ×6, first 2 shown]
	v_add_f64_e64 v[36:37], v[68:69], -v[38:39]
	v_add_f64_e64 v[96:97], v[38:39], -v[70:71]
	v_add_f64_e32 v[38:39], v[68:69], v[38:39]
	v_add_f64_e64 v[40:41], v[84:85], -v[42:43]
	v_add_f64_e32 v[98:99], v[84:85], v[42:43]
	v_add_f64_e64 v[100:101], v[42:43], -v[86:87]
	scratch_load_b32 v60, off, off offset:824 th:TH_LOAD_LU ; 4-byte Folded Reload
	v_mul_f64_e32 v[102:103], s[16:17], v[36:37]
	v_mul_f64_e32 v[36:37], s[14:15], v[90:91]
	v_add_f64_e32 v[118:119], v[38:39], v[70:71]
	v_mul_f64_e32 v[116:117], s[16:17], v[40:41]
	v_add_f64_e32 v[98:99], v[98:99], v[86:87]
	v_mul_f64_e32 v[38:39], s[14:15], v[94:95]
	v_fma_f64 v[40:41], v[96:97], s[10:11], -v[102:103]
	v_fma_f64 v[36:37], v[88:89], s[2:3], -v[36:37]
	s_delay_alu instid0(VALU_DEP_3) | instskip(NEXT) | instid1(VALU_DEP_3)
	v_fma_f64 v[38:39], v[92:93], s[2:3], -v[38:39]
	v_fma_f64 v[42:43], v[118:119], s[18:19], v[40:41]
	v_fma_f64 v[40:41], v[100:101], s[10:11], -v[116:117]
	s_delay_alu instid0(VALU_DEP_4) | instskip(NEXT) | instid1(VALU_DEP_4)
	v_add_f64_e32 v[132:133], v[36:37], v[120:121]
	v_add_f64_e32 v[136:137], v[38:39], v[122:123]
	s_delay_alu instid0(VALU_DEP_3) | instskip(NEXT) | instid1(VALU_DEP_2)
	v_fma_f64 v[40:41], v[98:99], s[18:19], v[40:41]
	v_add_f64_e32 v[38:39], v[42:43], v[136:137]
	v_add_f64_e64 v[42:43], v[136:137], -v[42:43]
	v_add_f64_e64 v[136:137], v[70:71], -v[68:69]
	v_mul_f64_e32 v[68:69], s[10:11], v[96:97]
	v_mul_f64_e32 v[70:71], s[10:11], v[100:101]
	v_add_f64_e64 v[36:37], v[132:133], -v[40:41]
	v_add_f64_e32 v[40:41], v[40:41], v[132:133]
	v_add_f64_e64 v[132:133], v[134:135], -v[138:139]
	v_add_f64_e64 v[134:135], v[142:143], -v[146:147]
	;; [unrolled: 1-line block ×3, first 2 shown]
	v_fma_f64 v[68:69], v[136:137], s[24:25], -v[68:69]
	s_delay_alu instid0(VALU_DEP_4) | instskip(NEXT) | instid1(VALU_DEP_4)
	v_mul_f64_e32 v[96:97], s[26:27], v[132:133]
	v_mul_f64_e32 v[100:101], s[26:27], v[134:135]
	s_delay_alu instid0(VALU_DEP_4) | instskip(NEXT) | instid1(VALU_DEP_3)
	v_fma_f64 v[70:71], v[138:139], s[24:25], -v[70:71]
	v_fma_f64 v[84:85], v[88:89], s[20:21], -v[96:97]
	s_delay_alu instid0(VALU_DEP_3) | instskip(SKIP_1) | instid1(VALU_DEP_4)
	v_fma_f64 v[86:87], v[92:93], s[20:21], -v[100:101]
	v_fma_f64 v[88:89], v[118:119], s[18:19], v[68:69]
	v_fma_f64 v[92:93], v[98:99], s[18:19], v[70:71]
	;; [unrolled: 1-line block ×4, first 2 shown]
	v_add_f64_e32 v[84:85], v[84:85], v[120:121]
	v_add_f64_e32 v[86:87], v[86:87], v[122:123]
	s_delay_alu instid0(VALU_DEP_3) | instskip(NEXT) | instid1(VALU_DEP_3)
	v_add_f64_e32 v[94:95], v[94:95], v[122:123]
	v_add_f64_e32 v[68:69], v[92:93], v[84:85]
	s_delay_alu instid0(VALU_DEP_3) | instskip(SKIP_4) | instid1(VALU_DEP_2)
	v_add_f64_e64 v[70:71], v[86:87], -v[88:89]
	v_add_f64_e64 v[84:85], v[84:85], -v[92:93]
	v_add_f64_e32 v[86:87], v[88:89], v[86:87]
	v_fma_f64 v[88:89], v[136:137], s[22:23], v[102:103]
	v_fma_f64 v[92:93], v[138:139], s[22:23], v[116:117]
	;; [unrolled: 1-line block ×3, first 2 shown]
	s_delay_alu instid0(VALU_DEP_2) | instskip(SKIP_1) | instid1(VALU_DEP_3)
	v_fma_f64 v[92:93], v[98:99], s[18:19], v[92:93]
	v_add_f64_e32 v[98:99], v[90:91], v[120:121]
	v_add_f64_e64 v[90:91], v[94:95], -v[96:97]
	v_add_f64_e32 v[94:95], v[96:97], v[94:95]
	s_delay_alu instid0(VALU_DEP_3)
	v_add_f64_e32 v[88:89], v[92:93], v[98:99]
	v_add_f64_e64 v[92:93], v[98:99], -v[92:93]
	s_wait_loadcnt 0x0
	ds_store_b128 v60, v[56:59]
	ds_store_b128 v60, v[88:91] offset:640
	ds_store_b128 v60, v[68:71] offset:1280
	;; [unrolled: 1-line block ×6, first 2 shown]
	s_and_saveexec_b32 s1, s0
	s_cbranch_execz .LBB0_37
; %bb.36:
	s_clause 0x6
	scratch_load_b128 v[84:87], off, off offset:884 th:TH_LOAD_LU
	scratch_load_b128 v[98:101], off, off offset:28 th:TH_LOAD_LU
	scratch_load_b128 v[72:75], off, off offset:836 th:TH_LOAD_LU
	scratch_load_b128 v[80:83], off, off offset:868 th:TH_LOAD_LU
	scratch_load_b128 v[94:97], off, off offset:12 th:TH_LOAD_LU
	scratch_load_b128 v[76:79], off, off offset:852 th:TH_LOAD_LU
	scratch_load_b128 v[90:93], off, off offset:916 th:TH_LOAD_LU
	s_wait_loadcnt 0x5
	v_mul_f64_e32 v[36:37], v[86:87], v[98:99]
	v_mul_f64_e32 v[58:59], v[86:87], v[100:101]
	scratch_load_b128 v[86:89], off, off offset:900 th:TH_LOAD_LU ; 16-byte Folded Reload
	s_wait_loadcnt 0x5
	v_mul_f64_e32 v[38:39], v[74:75], v[112:113]
	s_wait_loadcnt 0x3
	v_mul_f64_e32 v[40:41], v[82:83], v[94:95]
	;; [unrolled: 2-line block ×3, first 2 shown]
	v_mul_f64_e32 v[56:57], v[74:75], v[114:115]
	v_mul_f64_e32 v[60:61], v[78:79], v[126:127]
	;; [unrolled: 1-line block ×3, first 2 shown]
	s_wait_loadcnt 0x1
	v_mul_f64_e32 v[64:65], v[92:93], v[50:51]
	v_mul_f64_e32 v[70:71], v[92:93], v[48:49]
	v_fma_f64 v[36:37], v[84:85], v[100:101], -v[36:37]
	v_fma_f64 v[58:59], v[84:85], v[98:99], v[58:59]
	v_fma_f64 v[38:39], v[72:73], v[114:115], -v[38:39]
	v_fma_f64 v[40:41], v[80:81], v[96:97], -v[40:41]
	;; [unrolled: 1-line block ×3, first 2 shown]
	v_fma_f64 v[56:57], v[72:73], v[112:113], v[56:57]
	v_fma_f64 v[60:61], v[76:77], v[124:125], v[60:61]
	;; [unrolled: 1-line block ×4, first 2 shown]
	v_fma_f64 v[50:51], v[90:91], v[50:51], -v[70:71]
	v_add_f64_e32 v[70:71], v[42:43], v[40:41]
	v_add_f64_e32 v[72:73], v[56:57], v[58:59]
	v_add_f64_e64 v[56:57], v[56:57], -v[58:59]
	v_add_f64_e32 v[74:75], v[60:61], v[62:63]
	v_add_f64_e64 v[60:61], v[60:61], -v[62:63]
	v_add_f64_e64 v[40:41], v[42:43], -v[40:41]
	;; [unrolled: 1-line block ×3, first 2 shown]
	s_delay_alu instid0(VALU_DEP_3) | instskip(NEXT) | instid1(VALU_DEP_2)
	v_add_f64_e64 v[78:79], v[60:61], -v[56:57]
	v_add_f64_e64 v[82:83], v[40:41], -v[42:43]
	s_wait_loadcnt 0x0
	v_mul_f64_e32 v[66:67], v[88:89], v[130:131]
	v_mul_f64_e32 v[68:69], v[88:89], v[128:129]
	s_delay_alu instid0(VALU_DEP_4) | instskip(NEXT) | instid1(VALU_DEP_3)
	v_mul_f64_e32 v[88:89], s[10:11], v[78:79]
	v_fma_f64 v[64:65], v[86:87], v[128:129], v[66:67]
	s_delay_alu instid0(VALU_DEP_3) | instskip(SKIP_2) | instid1(VALU_DEP_4)
	v_fma_f64 v[66:67], v[86:87], v[130:131], -v[68:69]
	v_add_f64_e32 v[68:69], v[38:39], v[36:37]
	v_add_f64_e32 v[36:37], v[74:75], v[72:73]
	v_add_f64_e64 v[76:77], v[48:49], -v[64:65]
	s_delay_alu instid0(VALU_DEP_4)
	v_add_f64_e32 v[62:63], v[66:67], v[50:51]
	v_add_f64_e32 v[48:49], v[64:65], v[48:49]
	;; [unrolled: 1-line block ×3, first 2 shown]
	v_add_f64_e64 v[50:51], v[50:51], -v[66:67]
	v_add_f64_e64 v[38:39], v[76:77], -v[60:61]
	;; [unrolled: 1-line block ×4, first 2 shown]
	v_add_f64_e32 v[58:59], v[62:63], v[58:59]
	v_add_f64_e64 v[62:63], v[62:63], -v[70:71]
	v_add_f64_e64 v[80:81], v[50:51], -v[40:41]
	v_add_f64_e32 v[84:85], v[48:49], v[36:37]
	v_add_f64_e64 v[48:49], v[48:49], -v[74:75]
	v_add_f64_e64 v[86:87], v[56:57], -v[76:77]
	v_add_f64_e32 v[60:61], v[76:77], v[60:61]
	v_add_f64_e32 v[40:41], v[50:51], v[40:41]
	v_add_f64_e64 v[50:51], v[42:43], -v[50:51]
	v_mul_f64_e32 v[76:77], s[16:17], v[38:39]
	v_mul_f64_e32 v[64:65], s[26:27], v[64:65]
	;; [unrolled: 1-line block ×3, first 2 shown]
	v_add_f64_e32 v[38:39], v[54:55], v[58:59]
	v_add_f64_e64 v[54:55], v[70:71], -v[68:69]
	v_mul_f64_e32 v[68:69], s[14:15], v[62:63]
	v_mul_f64_e32 v[70:71], s[16:17], v[80:81]
	;; [unrolled: 1-line block ×3, first 2 shown]
	v_add_f64_e32 v[36:37], v[52:53], v[84:85]
	v_add_f64_e64 v[52:53], v[74:75], -v[72:73]
	v_mul_f64_e32 v[72:73], s[14:15], v[48:49]
	v_add_f64_e32 v[56:57], v[60:61], v[56:57]
	v_add_f64_e32 v[40:41], v[40:41], v[42:43]
	v_fma_f64 v[42:43], v[86:87], s[22:23], v[76:77]
	v_fma_f64 v[60:61], v[62:63], s[14:15], v[64:65]
	;; [unrolled: 1-line block ×3, first 2 shown]
	v_fma_f64 v[62:63], v[86:87], s[24:25], -v[88:89]
	v_fma_f64 v[74:75], v[78:79], s[10:11], -v[76:77]
	v_fma_f64 v[58:59], v[58:59], s[12:13], v[38:39]
	v_fma_f64 v[64:65], v[54:55], s[20:21], -v[64:65]
	v_fma_f64 v[54:55], v[54:55], s[2:3], -v[68:69]
	v_fma_f64 v[68:69], v[50:51], s[22:23], v[70:71]
	;; [unrolled: 3-line block ×4, first 2 shown]
	v_fma_f64 v[62:63], v[56:57], s[18:19], v[62:63]
	v_fma_f64 v[56:57], v[56:57], s[18:19], v[74:75]
	v_add_f64_e32 v[60:61], v[60:61], v[58:59]
	v_add_f64_e32 v[64:65], v[64:65], v[58:59]
	;; [unrolled: 1-line block ×3, first 2 shown]
	v_fma_f64 v[68:69], v[40:41], s[18:19], v[68:69]
	v_fma_f64 v[74:75], v[40:41], s[18:19], v[50:51]
	;; [unrolled: 1-line block ×3, first 2 shown]
	v_add_f64_e32 v[70:71], v[48:49], v[76:77]
	v_add_f64_e32 v[48:49], v[66:67], v[76:77]
	;; [unrolled: 1-line block ×3, first 2 shown]
	v_add_f64_e64 v[66:67], v[60:61], -v[72:73]
	v_add_f64_e32 v[50:51], v[62:63], v[64:65]
	v_add_f64_e64 v[54:55], v[58:59], -v[56:57]
	v_add_f64_e32 v[58:59], v[56:57], v[58:59]
	v_add_f64_e64 v[62:63], v[64:65], -v[62:63]
	v_add_f64_e32 v[42:43], v[72:73], v[60:61]
	v_add_f64_e32 v[64:65], v[68:69], v[70:71]
	v_add_f64_e32 v[60:61], v[74:75], v[48:49]
	v_add_f64_e64 v[56:57], v[52:53], -v[40:41]
	v_add_f64_e32 v[52:53], v[40:41], v[52:53]
	v_add_f64_e64 v[40:41], v[70:71], -v[68:69]
	scratch_load_b32 v68, off, off offset:444 th:TH_LOAD_LU ; 4-byte Folded Reload
	v_add_f64_e64 v[48:49], v[48:49], -v[74:75]
	s_wait_loadcnt 0x0
	v_lshlrev_b32_e32 v68, 4, v68
	ds_store_b128 v68, v[36:39] offset:17920
	ds_store_b128 v68, v[64:67] offset:18560
	;; [unrolled: 1-line block ×7, first 2 shown]
.LBB0_37:
	s_wait_alu 0xfffe
	s_or_b32 exec_lo, exec_lo, s1
	global_wb scope:SCOPE_SE
	s_wait_dscnt 0x0
	s_barrier_signal -1
	s_barrier_wait -1
	global_inv scope:SCOPE_SE
	ds_load_b128 v[36:39], v168 offset:4480
	ds_load_b128 v[48:51], v168 offset:9856
	s_mov_b32 s0, 0x134454ff
	s_mov_b32 s1, 0xbfee6f0e
	;; [unrolled: 1-line block ×3, first 2 shown]
	s_wait_alu 0xfffe
	s_mov_b32 s2, s0
	s_mov_b32 s10, 0x4755a5e
	;; [unrolled: 1-line block ×4, first 2 shown]
	s_wait_alu 0xfffe
	s_mov_b32 s12, s10
	s_mov_b32 s14, 0x372fe950
	;; [unrolled: 1-line block ×3, first 2 shown]
	ds_load_b128 v[54:57], v168 offset:14336
	s_wait_dscnt 0x2
	v_mul_f64_e32 v[40:41], v[230:231], v[38:39]
	s_delay_alu instid0(VALU_DEP_1) | instskip(SKIP_1) | instid1(VALU_DEP_1)
	v_fma_f64 v[84:85], v[228:229], v[36:37], v[40:41]
	v_mul_f64_e32 v[36:37], v[230:231], v[36:37]
	v_fma_f64 v[82:83], v[228:229], v[38:39], -v[36:37]
	ds_load_b128 v[36:39], v168 offset:8960
	s_wait_dscnt 0x0
	v_mul_f64_e32 v[40:41], v[226:227], v[38:39]
	s_delay_alu instid0(VALU_DEP_1) | instskip(SKIP_1) | instid1(VALU_DEP_1)
	v_fma_f64 v[86:87], v[224:225], v[36:37], v[40:41]
	v_mul_f64_e32 v[36:37], v[226:227], v[36:37]
	v_fma_f64 v[88:89], v[224:225], v[38:39], -v[36:37]
	ds_load_b128 v[36:39], v168 offset:13440
	s_wait_dscnt 0x0
	v_mul_f64_e32 v[40:41], v[222:223], v[38:39]
	s_delay_alu instid0(VALU_DEP_1) | instskip(SKIP_1) | instid1(VALU_DEP_2)
	v_fma_f64 v[92:93], v[220:221], v[36:37], v[40:41]
	v_mul_f64_e32 v[36:37], v[222:223], v[36:37]
	v_add_f64_e64 v[104:105], v[86:87], -v[92:93]
	s_delay_alu instid0(VALU_DEP_2) | instskip(SKIP_4) | instid1(VALU_DEP_2)
	v_fma_f64 v[90:91], v[220:221], v[38:39], -v[36:37]
	ds_load_b128 v[36:39], v168 offset:17920
	s_wait_dscnt 0x0
	v_mul_f64_e32 v[40:41], v[218:219], v[38:39]
	v_add_f64_e64 v[100:101], v[88:89], -v[90:91]
	v_fma_f64 v[94:95], v[216:217], v[36:37], v[40:41]
	v_mul_f64_e32 v[36:37], v[218:219], v[36:37]
	s_delay_alu instid0(VALU_DEP_2) | instskip(NEXT) | instid1(VALU_DEP_2)
	v_add_f64_e64 v[102:103], v[84:85], -v[94:95]
	v_fma_f64 v[96:97], v[216:217], v[38:39], -v[36:37]
	ds_load_b128 v[36:39], v168 offset:5376
	s_wait_dscnt 0x0
	v_mul_f64_e32 v[40:41], v[250:251], v[38:39]
	v_add_f64_e64 v[98:99], v[82:83], -v[96:97]
	s_delay_alu instid0(VALU_DEP_2) | instskip(SKIP_1) | instid1(VALU_DEP_1)
	v_fma_f64 v[40:41], v[248:249], v[36:37], v[40:41]
	v_mul_f64_e32 v[36:37], v[250:251], v[36:37]
	v_fma_f64 v[38:39], v[248:249], v[38:39], -v[36:37]
	v_mul_f64_e32 v[36:37], v[246:247], v[50:51]
	s_delay_alu instid0(VALU_DEP_1) | instskip(SKIP_1) | instid1(VALU_DEP_2)
	v_fma_f64 v[42:43], v[244:245], v[48:49], v[36:37]
	v_mul_f64_e32 v[36:37], v[246:247], v[48:49]
	v_add_f64_e64 v[108:109], v[42:43], -v[40:41]
	s_delay_alu instid0(VALU_DEP_2) | instskip(SKIP_2) | instid1(VALU_DEP_2)
	v_fma_f64 v[48:49], v[244:245], v[50:51], -v[36:37]
	v_mul_f64_e32 v[36:37], v[2:3], v[56:57]
	v_mul_f64_e32 v[2:3], v[2:3], v[54:55]
	v_fma_f64 v[52:53], v[0:1], v[54:55], v[36:37]
	s_delay_alu instid0(VALU_DEP_2) | instskip(SKIP_3) | instid1(VALU_DEP_1)
	v_fma_f64 v[50:51], v[0:1], v[56:57], -v[2:3]
	ds_load_b128 v[0:3], v168 offset:18816
	s_wait_dscnt 0x0
	v_mul_f64_e32 v[36:37], v[254:255], v[2:3]
	v_fma_f64 v[54:55], v[252:253], v[0:1], v[36:37]
	v_mul_f64_e32 v[0:1], v[254:255], v[0:1]
	s_delay_alu instid0(VALU_DEP_1) | instskip(SKIP_3) | instid1(VALU_DEP_1)
	v_fma_f64 v[56:57], v[252:253], v[2:3], -v[0:1]
	ds_load_b128 v[0:3], v168 offset:6272
	s_wait_dscnt 0x0
	v_mul_f64_e32 v[36:37], v[26:27], v[2:3]
	v_fma_f64 v[36:37], v[24:25], v[0:1], v[36:37]
	v_mul_f64_e32 v[0:1], v[26:27], v[0:1]
	s_delay_alu instid0(VALU_DEP_1) | instskip(SKIP_3) | instid1(VALU_DEP_1)
	;; [unrolled: 7-line block ×3, first 2 shown]
	v_fma_f64 v[20:21], v[20:21], v[2:3], -v[0:1]
	ds_load_b128 v[0:3], v168 offset:15232
	s_wait_dscnt 0x0
	v_mul_f64_e32 v[22:23], v[238:239], v[2:3]
	v_fma_f64 v[76:77], v[236:237], v[0:1], v[22:23]
	v_mul_f64_e32 v[0:1], v[238:239], v[0:1]
	s_delay_alu instid0(VALU_DEP_2) | instskip(NEXT) | instid1(VALU_DEP_2)
	v_add_f64_e64 v[112:113], v[26:27], -v[76:77]
	v_fma_f64 v[74:75], v[236:237], v[2:3], -v[0:1]
	ds_load_b128 v[0:3], v168 offset:19712
	s_wait_dscnt 0x0
	v_mul_f64_e32 v[22:23], v[234:235], v[2:3]
	s_delay_alu instid0(VALU_DEP_1) | instskip(SKIP_1) | instid1(VALU_DEP_2)
	v_fma_f64 v[78:79], v[232:233], v[0:1], v[22:23]
	v_mul_f64_e32 v[0:1], v[234:235], v[0:1]
	v_add_f64_e64 v[110:111], v[36:37], -v[78:79]
	s_delay_alu instid0(VALU_DEP_2) | instskip(SKIP_3) | instid1(VALU_DEP_1)
	v_fma_f64 v[80:81], v[232:233], v[2:3], -v[0:1]
	ds_load_b128 v[0:3], v168 offset:7168
	s_wait_dscnt 0x0
	v_mul_f64_e32 v[22:23], v[18:19], v[2:3]
	v_fma_f64 v[60:61], v[16:17], v[0:1], v[22:23]
	v_mul_f64_e32 v[0:1], v[18:19], v[0:1]
	s_delay_alu instid0(VALU_DEP_1) | instskip(SKIP_3) | instid1(VALU_DEP_1)
	v_fma_f64 v[58:59], v[16:17], v[2:3], -v[0:1]
	ds_load_b128 v[0:3], v168 offset:11648
	s_wait_dscnt 0x0
	v_mul_f64_e32 v[16:17], v[14:15], v[2:3]
	v_fma_f64 v[68:69], v[12:13], v[0:1], v[16:17]
	v_mul_f64_e32 v[0:1], v[14:15], v[0:1]
	s_delay_alu instid0(VALU_DEP_1) | instskip(SKIP_3) | instid1(VALU_DEP_1)
	v_fma_f64 v[62:63], v[12:13], v[2:3], -v[0:1]
	ds_load_b128 v[0:3], v168 offset:16128
	s_wait_dscnt 0x0
	v_mul_f64_e32 v[12:13], v[10:11], v[2:3]
	v_fma_f64 v[64:65], v[8:9], v[0:1], v[12:13]
	v_mul_f64_e32 v[0:1], v[10:11], v[0:1]
	s_delay_alu instid0(VALU_DEP_2) | instskip(NEXT) | instid1(VALU_DEP_2)
	v_add_f64_e64 v[116:117], v[68:69], -v[64:65]
	v_fma_f64 v[66:67], v[8:9], v[2:3], -v[0:1]
	ds_load_b128 v[0:3], v168 offset:20608
	s_wait_dscnt 0x0
	v_mul_f64_e32 v[8:9], v[6:7], v[2:3]
	s_delay_alu instid0(VALU_DEP_1) | instskip(SKIP_1) | instid1(VALU_DEP_2)
	v_fma_f64 v[70:71], v[4:5], v[0:1], v[8:9]
	v_mul_f64_e32 v[0:1], v[6:7], v[0:1]
	v_add_f64_e64 v[114:115], v[60:61], -v[70:71]
	s_delay_alu instid0(VALU_DEP_2) | instskip(SKIP_3) | instid1(VALU_DEP_1)
	v_fma_f64 v[72:73], v[4:5], v[2:3], -v[0:1]
	ds_load_b128 v[0:3], v168 offset:8064
	s_wait_dscnt 0x0
	v_mul_f64_e32 v[4:5], v[34:35], v[2:3]
	v_fma_f64 v[14:15], v[32:33], v[0:1], v[4:5]
	v_mul_f64_e32 v[0:1], v[34:35], v[0:1]
	s_delay_alu instid0(VALU_DEP_1) | instskip(SKIP_3) | instid1(VALU_DEP_1)
	v_fma_f64 v[12:13], v[32:33], v[2:3], -v[0:1]
	ds_load_b128 v[0:3], v168 offset:12544
	s_wait_dscnt 0x0
	v_mul_f64_e32 v[4:5], v[46:47], v[2:3]
	v_fma_f64 v[16:17], v[44:45], v[0:1], v[4:5]
	v_mul_f64_e32 v[0:1], v[46:47], v[0:1]
	s_delay_alu instid0(VALU_DEP_1) | instskip(SKIP_3) | instid1(VALU_DEP_1)
	v_fma_f64 v[18:19], v[44:45], v[2:3], -v[0:1]
	ds_load_b128 v[0:3], v168 offset:17024
	s_wait_dscnt 0x0
	v_mul_f64_e32 v[4:5], v[30:31], v[2:3]
	v_fma_f64 v[22:23], v[28:29], v[0:1], v[4:5]
	v_mul_f64_e32 v[0:1], v[30:31], v[0:1]
	s_delay_alu instid0(VALU_DEP_2) | instskip(NEXT) | instid1(VALU_DEP_2)
	v_add_f64_e64 v[118:119], v[16:17], -v[22:23]
	v_fma_f64 v[28:29], v[28:29], v[2:3], -v[0:1]
	ds_load_b128 v[0:3], v168 offset:21504
	s_wait_dscnt 0x0
	v_mul_f64_e32 v[4:5], v[242:243], v[2:3]
	s_delay_alu instid0(VALU_DEP_1)
	v_fma_f64 v[30:31], v[240:241], v[0:1], v[4:5]
	v_mul_f64_e32 v[0:1], v[242:243], v[0:1]
	ds_load_b128 v[4:7], v168
	v_add_f64_e64 v[120:121], v[14:15], -v[30:31]
	v_fma_f64 v[32:33], v[240:241], v[2:3], -v[0:1]
	v_add_f64_e64 v[0:1], v[84:85], -v[86:87]
	v_add_f64_e64 v[2:3], v[94:95], -v[92:93]
	s_delay_alu instid0(VALU_DEP_1) | instskip(SKIP_2) | instid1(VALU_DEP_1)
	v_add_f64_e32 v[8:9], v[0:1], v[2:3]
	v_add_f64_e64 v[0:1], v[82:83], -v[88:89]
	v_add_f64_e64 v[2:3], v[96:97], -v[90:91]
	v_add_f64_e32 v[10:11], v[0:1], v[2:3]
	v_add_f64_e32 v[0:1], v[86:87], v[92:93]
	s_wait_dscnt 0x0
	s_delay_alu instid0(VALU_DEP_1) | instskip(SKIP_1) | instid1(VALU_DEP_1)
	v_fma_f64 v[34:35], v[0:1], -0.5, v[4:5]
	v_add_f64_e32 v[0:1], v[88:89], v[90:91]
	v_fma_f64 v[44:45], v[0:1], -0.5, v[6:7]
	s_delay_alu instid0(VALU_DEP_3) | instskip(SKIP_1) | instid1(VALU_DEP_3)
	v_fma_f64 v[0:1], v[98:99], s[0:1], v[34:35]
	v_fma_f64 v[34:35], v[98:99], s[2:3], v[34:35]
	;; [unrolled: 1-line block ×4, first 2 shown]
	s_delay_alu instid0(VALU_DEP_4) | instskip(SKIP_1) | instid1(VALU_DEP_4)
	v_fma_f64 v[0:1], v[100:101], s[10:11], v[0:1]
	s_wait_alu 0xfffe
	v_fma_f64 v[34:35], v[100:101], s[12:13], v[34:35]
	s_delay_alu instid0(VALU_DEP_4) | instskip(NEXT) | instid1(VALU_DEP_4)
	v_fma_f64 v[2:3], v[104:105], s[12:13], v[2:3]
	v_fma_f64 v[44:45], v[104:105], s[10:11], v[44:45]
	s_delay_alu instid0(VALU_DEP_4) | instskip(NEXT) | instid1(VALU_DEP_4)
	v_fma_f64 v[0:1], v[8:9], s[14:15], v[0:1]
	v_fma_f64 v[8:9], v[8:9], s[14:15], v[34:35]
	v_add_f64_e32 v[34:35], v[84:85], v[94:95]
	v_fma_f64 v[2:3], v[10:11], s[14:15], v[2:3]
	v_fma_f64 v[10:11], v[10:11], s[14:15], v[44:45]
	v_add_f64_e32 v[44:45], v[82:83], v[96:97]
	s_delay_alu instid0(VALU_DEP_4) | instskip(SKIP_2) | instid1(VALU_DEP_4)
	v_fma_f64 v[34:35], v[34:35], -0.5, v[4:5]
	v_add_f64_e32 v[4:5], v[4:5], v[84:85]
	v_add_f64_e64 v[84:85], v[86:87], -v[84:85]
	v_fma_f64 v[106:107], v[44:45], -0.5, v[6:7]
	v_add_f64_e32 v[6:7], v[6:7], v[82:83]
	v_add_f64_e64 v[82:83], v[88:89], -v[82:83]
	v_add_f64_e32 v[4:5], v[4:5], v[86:87]
	v_add_f64_e64 v[86:87], v[92:93], -v[94:95]
	s_delay_alu instid0(VALU_DEP_4) | instskip(SKIP_1) | instid1(VALU_DEP_4)
	v_add_f64_e32 v[6:7], v[6:7], v[88:89]
	v_fma_f64 v[88:89], v[104:105], s[0:1], v[106:107]
	v_add_f64_e32 v[4:5], v[4:5], v[92:93]
	s_delay_alu instid0(VALU_DEP_4) | instskip(NEXT) | instid1(VALU_DEP_4)
	v_add_f64_e32 v[86:87], v[84:85], v[86:87]
	v_add_f64_e32 v[6:7], v[6:7], v[90:91]
	s_delay_alu instid0(VALU_DEP_3)
	v_add_f64_e32 v[44:45], v[4:5], v[94:95]
	v_add_f64_e64 v[4:5], v[90:91], -v[96:97]
	v_fma_f64 v[90:91], v[104:105], s[2:3], v[106:107]
	v_add_f64_e64 v[104:105], v[40:41], -v[54:55]
	v_add_f64_e64 v[106:107], v[42:43], -v[52:53]
	v_add_f64_e32 v[46:47], v[6:7], v[96:97]
	v_fma_f64 v[6:7], v[100:101], s[2:3], v[34:35]
	v_fma_f64 v[34:35], v[100:101], s[0:1], v[34:35]
	v_add_f64_e32 v[92:93], v[82:83], v[4:5]
	v_add_f64_e64 v[100:101], v[38:39], -v[56:57]
	s_delay_alu instid0(VALU_DEP_4) | instskip(NEXT) | instid1(VALU_DEP_4)
	v_fma_f64 v[4:5], v[98:99], s[10:11], v[6:7]
	v_fma_f64 v[6:7], v[98:99], s[12:13], v[34:35]
	;; [unrolled: 1-line block ×4, first 2 shown]
	v_add_f64_e32 v[90:91], v[42:43], v[52:53]
	v_add_f64_e64 v[102:103], v[48:49], -v[50:51]
	v_fma_f64 v[82:83], v[86:87], s[14:15], v[4:5]
	v_fma_f64 v[4:5], v[86:87], s[14:15], v[6:7]
	;; [unrolled: 1-line block ×3, first 2 shown]
	v_add_f64_e64 v[34:35], v[40:41], -v[42:43]
	v_add_f64_e64 v[86:87], v[54:55], -v[52:53]
	v_fma_f64 v[6:7], v[92:93], s[14:15], v[88:89]
	v_add_f64_e64 v[88:89], v[56:57], -v[50:51]
	s_delay_alu instid0(VALU_DEP_3) | instskip(SKIP_1) | instid1(VALU_DEP_1)
	v_add_f64_e32 v[34:35], v[34:35], v[86:87]
	v_add_f64_e64 v[86:87], v[38:39], -v[48:49]
	v_add_f64_e32 v[96:97], v[86:87], v[88:89]
	ds_load_b128 v[86:89], v168 offset:896
	s_wait_dscnt 0x0
	v_fma_f64 v[94:95], v[90:91], -0.5, v[86:87]
	v_add_f64_e32 v[90:91], v[48:49], v[50:51]
	s_delay_alu instid0(VALU_DEP_1) | instskip(NEXT) | instid1(VALU_DEP_3)
	v_fma_f64 v[98:99], v[90:91], -0.5, v[88:89]
	v_fma_f64 v[90:91], v[100:101], s[0:1], v[94:95]
	v_fma_f64 v[94:95], v[100:101], s[2:3], v[94:95]
	s_delay_alu instid0(VALU_DEP_3) | instskip(SKIP_1) | instid1(VALU_DEP_4)
	v_fma_f64 v[92:93], v[104:105], s[2:3], v[98:99]
	v_fma_f64 v[98:99], v[104:105], s[0:1], v[98:99]
	;; [unrolled: 1-line block ×3, first 2 shown]
	s_delay_alu instid0(VALU_DEP_4) | instskip(NEXT) | instid1(VALU_DEP_4)
	v_fma_f64 v[94:95], v[102:103], s[12:13], v[94:95]
	v_fma_f64 v[92:93], v[106:107], s[12:13], v[92:93]
	s_delay_alu instid0(VALU_DEP_4) | instskip(NEXT) | instid1(VALU_DEP_4)
	v_fma_f64 v[98:99], v[106:107], s[10:11], v[98:99]
	v_fma_f64 v[90:91], v[34:35], s[14:15], v[90:91]
	s_delay_alu instid0(VALU_DEP_4) | instskip(SKIP_4) | instid1(VALU_DEP_4)
	v_fma_f64 v[94:95], v[34:35], s[14:15], v[94:95]
	v_add_f64_e32 v[34:35], v[40:41], v[54:55]
	v_fma_f64 v[92:93], v[96:97], s[14:15], v[92:93]
	v_fma_f64 v[96:97], v[96:97], s[14:15], v[98:99]
	v_add_f64_e32 v[98:99], v[38:39], v[56:57]
	v_fma_f64 v[34:35], v[34:35], -0.5, v[86:87]
	v_add_f64_e32 v[86:87], v[86:87], v[40:41]
	s_delay_alu instid0(VALU_DEP_3) | instskip(SKIP_1) | instid1(VALU_DEP_3)
	v_fma_f64 v[98:99], v[98:99], -0.5, v[88:89]
	v_add_f64_e32 v[88:89], v[88:89], v[38:39]
	v_add_f64_e32 v[40:41], v[86:87], v[42:43]
	s_delay_alu instid0(VALU_DEP_2) | instskip(SKIP_1) | instid1(VALU_DEP_3)
	v_add_f64_e32 v[42:43], v[88:89], v[48:49]
	v_add_f64_e64 v[48:49], v[48:49], -v[38:39]
	v_add_f64_e32 v[38:39], v[40:41], v[52:53]
	s_delay_alu instid0(VALU_DEP_3)
	v_add_f64_e32 v[40:41], v[42:43], v[50:51]
	v_add_f64_e64 v[42:43], v[52:53], -v[54:55]
	v_add_f64_e64 v[50:51], v[50:51], -v[56:57]
	v_fma_f64 v[52:53], v[102:103], s[2:3], v[34:35]
	v_fma_f64 v[34:35], v[102:103], s[0:1], v[34:35]
	v_add_f64_e32 v[38:39], v[38:39], v[54:55]
	v_fma_f64 v[54:55], v[106:107], s[0:1], v[98:99]
	v_add_f64_e32 v[40:41], v[40:41], v[56:57]
	v_add_f64_e32 v[42:43], v[108:109], v[42:43]
	;; [unrolled: 1-line block ×3, first 2 shown]
	v_fma_f64 v[48:49], v[100:101], s[10:11], v[52:53]
	v_fma_f64 v[34:35], v[100:101], s[12:13], v[34:35]
	v_fma_f64 v[56:57], v[106:107], s[2:3], v[98:99]
	v_fma_f64 v[50:51], v[104:105], s[12:13], v[54:55]
	v_add_f64_e32 v[98:99], v[20:21], v[74:75]
	v_add_f64_e64 v[106:107], v[24:25], -v[80:81]
	v_add_f64_e64 v[108:109], v[20:21], -v[74:75]
	v_fma_f64 v[48:49], v[42:43], s[14:15], v[48:49]
	v_fma_f64 v[52:53], v[42:43], s[14:15], v[34:35]
	v_add_f64_e64 v[34:35], v[36:37], -v[26:27]
	v_add_f64_e64 v[42:43], v[78:79], -v[76:77]
	v_fma_f64 v[54:55], v[104:105], s[10:11], v[56:57]
	v_add_f64_e64 v[56:57], v[80:81], -v[74:75]
	v_fma_f64 v[50:51], v[86:87], s[14:15], v[50:51]
	s_delay_alu instid0(VALU_DEP_4)
	v_add_f64_e32 v[34:35], v[34:35], v[42:43]
	v_add_f64_e64 v[42:43], v[24:25], -v[20:21]
	v_fma_f64 v[54:55], v[86:87], s[14:15], v[54:55]
	ds_load_b128 v[86:89], v168 offset:1792
	s_wait_dscnt 0x0
	v_fma_f64 v[102:103], v[98:99], -0.5, v[88:89]
	v_add_f64_e32 v[42:43], v[42:43], v[56:57]
	v_add_f64_e32 v[56:57], v[26:27], v[76:77]
	s_delay_alu instid0(VALU_DEP_3) | instskip(SKIP_1) | instid1(VALU_DEP_3)
	v_fma_f64 v[100:101], v[110:111], s[2:3], v[102:103]
	v_fma_f64 v[102:103], v[110:111], s[0:1], v[102:103]
	v_fma_f64 v[56:57], v[56:57], -0.5, v[86:87]
	s_delay_alu instid0(VALU_DEP_3) | instskip(NEXT) | instid1(VALU_DEP_3)
	v_fma_f64 v[100:101], v[112:113], s[12:13], v[100:101]
	v_fma_f64 v[104:105], v[112:113], s[10:11], v[102:103]
	s_delay_alu instid0(VALU_DEP_3) | instskip(SKIP_1) | instid1(VALU_DEP_4)
	v_fma_f64 v[98:99], v[106:107], s[0:1], v[56:57]
	v_fma_f64 v[56:57], v[106:107], s[2:3], v[56:57]
	;; [unrolled: 1-line block ×3, first 2 shown]
	s_delay_alu instid0(VALU_DEP_4) | instskip(SKIP_3) | instid1(VALU_DEP_3)
	v_fma_f64 v[104:105], v[42:43], s[14:15], v[104:105]
	v_add_f64_e32 v[42:43], v[24:25], v[80:81]
	v_fma_f64 v[98:99], v[108:109], s[10:11], v[98:99]
	v_fma_f64 v[56:57], v[108:109], s[12:13], v[56:57]
	v_fma_f64 v[42:43], v[42:43], -0.5, v[88:89]
	s_delay_alu instid0(VALU_DEP_3) | instskip(NEXT) | instid1(VALU_DEP_3)
	v_fma_f64 v[98:99], v[34:35], s[14:15], v[98:99]
	v_fma_f64 v[102:103], v[34:35], s[14:15], v[56:57]
	v_add_f64_e32 v[34:35], v[36:37], v[78:79]
	v_add_f64_e32 v[56:57], v[86:87], v[36:37]
	v_add_f64_e64 v[36:37], v[26:27], -v[36:37]
	s_delay_alu instid0(VALU_DEP_3) | instskip(SKIP_1) | instid1(VALU_DEP_4)
	v_fma_f64 v[34:35], v[34:35], -0.5, v[86:87]
	v_add_f64_e32 v[86:87], v[88:89], v[24:25]
	v_add_f64_e32 v[56:57], v[56:57], v[26:27]
	s_delay_alu instid0(VALU_DEP_3) | instskip(NEXT) | instid1(VALU_DEP_3)
	v_fma_f64 v[88:89], v[108:109], s[2:3], v[34:35]
	v_add_f64_e32 v[26:27], v[86:87], v[20:21]
	v_add_f64_e64 v[20:21], v[20:21], -v[24:25]
	s_delay_alu instid0(VALU_DEP_4)
	v_add_f64_e32 v[24:25], v[56:57], v[76:77]
	v_add_f64_e64 v[56:57], v[76:77], -v[78:79]
	v_fma_f64 v[76:77], v[112:113], s[0:1], v[42:43]
	v_fma_f64 v[42:43], v[112:113], s[2:3], v[42:43]
	;; [unrolled: 1-line block ×3, first 2 shown]
	v_add_f64_e32 v[86:87], v[62:63], v[66:67]
	v_add_f64_e64 v[112:113], v[62:63], -v[66:67]
	v_add_f64_e32 v[26:27], v[26:27], v[74:75]
	v_add_f64_e64 v[74:75], v[74:75], -v[80:81]
	v_add_f64_e32 v[24:25], v[24:25], v[78:79]
	v_add_f64_e32 v[56:57], v[36:37], v[56:57]
	v_fma_f64 v[36:37], v[106:107], s[10:11], v[88:89]
	v_fma_f64 v[42:43], v[110:111], s[10:11], v[42:43]
	v_fma_f64 v[78:79], v[106:107], s[12:13], v[34:35]
	v_add_f64_e32 v[26:27], v[26:27], v[80:81]
	v_add_f64_e32 v[20:21], v[20:21], v[74:75]
	v_fma_f64 v[74:75], v[110:111], s[12:13], v[76:77]
	v_add_f64_e64 v[110:111], v[58:59], -v[72:73]
	v_fma_f64 v[34:35], v[56:57], s[14:15], v[36:37]
	s_delay_alu instid0(VALU_DEP_4) | instskip(NEXT) | instid1(VALU_DEP_4)
	v_fma_f64 v[76:77], v[20:21], s[14:15], v[42:43]
	v_fma_f64 v[36:37], v[20:21], s[14:15], v[74:75]
	v_add_f64_e64 v[20:21], v[60:61], -v[68:69]
	v_add_f64_e64 v[42:43], v[70:71], -v[64:65]
	v_fma_f64 v[74:75], v[56:57], s[14:15], v[78:79]
	v_add_f64_e64 v[56:57], v[72:73], -v[66:67]
	ds_load_b128 v[78:81], v168 offset:2688
	s_wait_dscnt 0x0
	v_fma_f64 v[106:107], v[86:87], -0.5, v[80:81]
	v_add_f64_e32 v[20:21], v[20:21], v[42:43]
	v_add_f64_e64 v[42:43], v[58:59], -v[62:63]
	s_delay_alu instid0(VALU_DEP_3) | instskip(SKIP_1) | instid1(VALU_DEP_3)
	v_fma_f64 v[88:89], v[114:115], s[2:3], v[106:107]
	v_fma_f64 v[106:107], v[114:115], s[0:1], v[106:107]
	v_add_f64_e32 v[42:43], v[42:43], v[56:57]
	v_add_f64_e32 v[56:57], v[68:69], v[64:65]
	s_delay_alu instid0(VALU_DEP_4) | instskip(NEXT) | instid1(VALU_DEP_4)
	v_fma_f64 v[88:89], v[116:117], s[12:13], v[88:89]
	v_fma_f64 v[108:109], v[116:117], s[10:11], v[106:107]
	s_delay_alu instid0(VALU_DEP_3) | instskip(NEXT) | instid1(VALU_DEP_3)
	v_fma_f64 v[56:57], v[56:57], -0.5, v[78:79]
	v_fma_f64 v[88:89], v[42:43], s[14:15], v[88:89]
	s_delay_alu instid0(VALU_DEP_3) | instskip(SKIP_1) | instid1(VALU_DEP_4)
	v_fma_f64 v[108:109], v[42:43], s[14:15], v[108:109]
	v_add_f64_e32 v[42:43], v[58:59], v[72:73]
	v_fma_f64 v[86:87], v[110:111], s[0:1], v[56:57]
	v_fma_f64 v[56:57], v[110:111], s[2:3], v[56:57]
	s_delay_alu instid0(VALU_DEP_3) | instskip(NEXT) | instid1(VALU_DEP_3)
	v_fma_f64 v[42:43], v[42:43], -0.5, v[80:81]
	v_fma_f64 v[86:87], v[112:113], s[10:11], v[86:87]
	s_delay_alu instid0(VALU_DEP_3) | instskip(NEXT) | instid1(VALU_DEP_2)
	v_fma_f64 v[56:57], v[112:113], s[12:13], v[56:57]
	v_fma_f64 v[86:87], v[20:21], s[14:15], v[86:87]
	s_delay_alu instid0(VALU_DEP_2) | instskip(SKIP_3) | instid1(VALU_DEP_3)
	v_fma_f64 v[106:107], v[20:21], s[14:15], v[56:57]
	v_add_f64_e32 v[20:21], v[60:61], v[70:71]
	v_add_f64_e32 v[56:57], v[78:79], v[60:61]
	v_add_f64_e64 v[60:61], v[68:69], -v[60:61]
	v_fma_f64 v[20:21], v[20:21], -0.5, v[78:79]
	v_add_f64_e32 v[78:79], v[80:81], v[58:59]
	s_delay_alu instid0(VALU_DEP_4) | instskip(SKIP_1) | instid1(VALU_DEP_4)
	v_add_f64_e32 v[56:57], v[56:57], v[68:69]
	v_add_f64_e32 v[80:81], v[12:13], v[32:33]
	v_fma_f64 v[68:69], v[112:113], s[2:3], v[20:21]
	s_delay_alu instid0(VALU_DEP_4) | instskip(NEXT) | instid1(VALU_DEP_4)
	v_add_f64_e32 v[78:79], v[78:79], v[62:63]
	v_add_f64_e32 v[56:57], v[56:57], v[64:65]
	v_fma_f64 v[20:21], v[112:113], s[0:1], v[20:21]
	v_add_f64_e64 v[62:63], v[62:63], -v[58:59]
	v_add_f64_e64 v[64:65], v[64:65], -v[70:71]
	v_add_f64_e32 v[58:59], v[78:79], v[66:67]
	v_add_f64_e32 v[56:57], v[56:57], v[70:71]
	v_add_f64_e64 v[66:67], v[66:67], -v[72:73]
	v_fma_f64 v[70:71], v[116:117], s[0:1], v[42:43]
	v_fma_f64 v[42:43], v[116:117], s[2:3], v[42:43]
	v_add_f64_e32 v[64:65], v[60:61], v[64:65]
	v_fma_f64 v[60:61], v[110:111], s[10:11], v[68:69]
	v_fma_f64 v[20:21], v[110:111], s[12:13], v[20:21]
	v_add_f64_e64 v[68:69], v[28:29], -v[32:33]
	v_add_f64_e64 v[116:117], v[12:13], -v[32:33]
	v_add_f64_e32 v[58:59], v[58:59], v[72:73]
	v_add_f64_e32 v[72:73], v[14:15], v[30:31]
	;; [unrolled: 1-line block ×3, first 2 shown]
	v_fma_f64 v[62:63], v[114:115], s[12:13], v[70:71]
	v_fma_f64 v[42:43], v[114:115], s[10:11], v[42:43]
	v_add_f64_e64 v[114:115], v[18:19], -v[28:29]
	v_fma_f64 v[60:61], v[64:65], s[14:15], v[60:61]
	v_fma_f64 v[64:65], v[64:65], s[14:15], v[20:21]
	v_add_f64_e64 v[20:21], v[16:17], -v[14:15]
	;; [unrolled: 3-line block ×3, first 2 shown]
	s_delay_alu instid0(VALU_DEP_1) | instskip(SKIP_1) | instid1(VALU_DEP_1)
	v_add_f64_e32 v[20:21], v[20:21], v[42:43]
	v_add_f64_e64 v[42:43], v[18:19], -v[12:13]
	v_add_f64_e32 v[42:43], v[42:43], v[68:69]
	ds_load_b128 v[68:71], v168 offset:3584
	s_wait_dscnt 0x0
	v_fma_f64 v[72:73], v[72:73], -0.5, v[68:69]
	v_fma_f64 v[110:111], v[80:81], -0.5, v[70:71]
	s_delay_alu instid0(VALU_DEP_2) | instskip(SKIP_1) | instid1(VALU_DEP_3)
	v_fma_f64 v[78:79], v[114:115], s[2:3], v[72:73]
	v_fma_f64 v[72:73], v[114:115], s[0:1], v[72:73]
	;; [unrolled: 1-line block ×4, first 2 shown]
	s_delay_alu instid0(VALU_DEP_4) | instskip(NEXT) | instid1(VALU_DEP_4)
	v_fma_f64 v[78:79], v[116:117], s[10:11], v[78:79]
	v_fma_f64 v[72:73], v[116:117], s[12:13], v[72:73]
	s_delay_alu instid0(VALU_DEP_4) | instskip(NEXT) | instid1(VALU_DEP_4)
	v_fma_f64 v[80:81], v[120:121], s[12:13], v[80:81]
	v_fma_f64 v[112:113], v[120:121], s[10:11], v[110:111]
	;; [unrolled: 3-line block ×3, first 2 shown]
	v_add_f64_e32 v[20:21], v[16:17], v[22:23]
	v_fma_f64 v[80:81], v[42:43], s[14:15], v[80:81]
	v_fma_f64 v[112:113], v[42:43], s[14:15], v[112:113]
	v_add_f64_e32 v[42:43], v[18:19], v[28:29]
	s_delay_alu instid0(VALU_DEP_4) | instskip(SKIP_1) | instid1(VALU_DEP_3)
	v_fma_f64 v[20:21], v[20:21], -0.5, v[68:69]
	v_add_f64_e32 v[68:69], v[68:69], v[14:15]
	v_fma_f64 v[42:43], v[42:43], -0.5, v[70:71]
	v_add_f64_e32 v[70:71], v[70:71], v[12:13]
	s_delay_alu instid0(VALU_DEP_4)
	v_fma_f64 v[72:73], v[116:117], s[0:1], v[20:21]
	v_fma_f64 v[20:21], v[116:117], s[2:3], v[20:21]
	v_add_f64_e64 v[116:117], v[14:15], -v[16:17]
	v_add_f64_e32 v[14:15], v[68:69], v[16:17]
	v_add_f64_e32 v[16:17], v[70:71], v[18:19]
	v_add_f64_e64 v[18:19], v[12:13], -v[18:19]
	v_fma_f64 v[20:21], v[114:115], s[12:13], v[20:21]
	s_delay_alu instid0(VALU_DEP_4) | instskip(NEXT) | instid1(VALU_DEP_4)
	v_add_f64_e32 v[12:13], v[14:15], v[22:23]
	v_add_f64_e32 v[14:15], v[16:17], v[28:29]
	v_add_f64_e64 v[16:17], v[30:31], -v[22:23]
	v_add_f64_e64 v[22:23], v[32:33], -v[28:29]
	v_fma_f64 v[28:29], v[120:121], s[2:3], v[42:43]
	s_mov_b32 s2, 0xe434a9b1
	s_mov_b32 s3, 0x3f4767dc
	v_add_f64_e32 v[12:13], v[12:13], v[30:31]
	v_fma_f64 v[30:31], v[120:121], s[0:1], v[42:43]
	v_add_f64_e32 v[14:15], v[14:15], v[32:33]
	v_add_f64_e32 v[32:33], v[116:117], v[16:17]
	v_fma_f64 v[16:17], v[114:115], s[10:11], v[72:73]
	v_add_f64_e32 v[22:23], v[18:19], v[22:23]
	v_fma_f64 v[18:19], v[118:119], s[12:13], v[28:29]
	v_fma_f64 v[28:29], v[118:119], s[10:11], v[30:31]
	;; [unrolled: 1-line block ×4, first 2 shown]
	s_delay_alu instid0(VALU_DEP_4) | instskip(NEXT) | instid1(VALU_DEP_4)
	v_fma_f64 v[18:19], v[22:23], s[14:15], v[18:19]
	v_fma_f64 v[22:23], v[22:23], s[14:15], v[28:29]
	ds_store_b128 v168, v[44:47]
	ds_store_b128 v168, v[38:41] offset:896
	ds_store_b128 v168, v[82:85] offset:8960
	;; [unrolled: 1-line block ×24, first 2 shown]
	global_wb scope:SCOPE_SE
	s_wait_dscnt 0x0
	s_barrier_signal -1
	s_barrier_wait -1
	global_inv scope:SCOPE_SE
	s_clause 0x4
	scratch_load_b128 v[6:9], off, off offset:428 th:TH_LOAD_LU
	scratch_load_b128 v[10:13], off, off offset:412 th:TH_LOAD_LU
	scratch_load_b128 v[14:17], off, off offset:380 th:TH_LOAD_LU
	scratch_load_b128 v[20:23], off, off offset:364 th:TH_LOAD_LU
	scratch_load_b128 v[30:33], off, off offset:348 th:TH_LOAD_LU
	ds_load_b128 v[2:5], v168
	s_clause 0x11
	scratch_load_b128 v[26:29], off, off offset:332 th:TH_LOAD_LU
	scratch_load_b128 v[38:41], off, off offset:316 th:TH_LOAD_LU
	;; [unrolled: 1-line block ×18, first 2 shown]
	s_wait_loadcnt_dscnt 0x1600
	v_mul_f64_e32 v[0:1], v[8:9], v[4:5]
	s_delay_alu instid0(VALU_DEP_1) | instskip(SKIP_2) | instid1(VALU_DEP_2)
	v_fma_f64 v[0:1], v[6:7], v[2:3], v[0:1]
	v_mul_f64_e32 v[2:3], v[8:9], v[2:3]
	s_wait_alu 0xfffe
	v_mul_f64_e32 v[0:1], s[2:3], v[0:1]
	s_delay_alu instid0(VALU_DEP_2) | instskip(SKIP_4) | instid1(VALU_DEP_2)
	v_fma_f64 v[2:3], v[6:7], v[4:5], -v[2:3]
	ds_load_b128 v[4:7], v168 offset:11200
	s_wait_loadcnt_dscnt 0x1500
	v_mul_f64_e32 v[8:9], v[12:13], v[6:7]
	v_mul_f64_e32 v[2:3], s[2:3], v[2:3]
	v_fma_f64 v[8:9], v[10:11], v[4:5], v[8:9]
	v_mul_f64_e32 v[4:5], v[12:13], v[4:5]
	s_delay_alu instid0(VALU_DEP_1) | instskip(SKIP_3) | instid1(VALU_DEP_1)
	v_fma_f64 v[12:13], v[10:11], v[6:7], -v[4:5]
	ds_load_b128 v[4:7], v168 offset:896
	s_wait_loadcnt_dscnt 0x1400
	v_mul_f64_e32 v[10:11], v[16:17], v[6:7]
	v_fma_f64 v[10:11], v[14:15], v[4:5], v[10:11]
	v_mul_f64_e32 v[4:5], v[16:17], v[4:5]
	ds_load_b128 v[16:19], v168 offset:12096
	v_fma_f64 v[14:15], v[14:15], v[6:7], -v[4:5]
	s_wait_loadcnt_dscnt 0x1300
	v_mul_f64_e32 v[4:5], v[22:23], v[18:19]
	v_mul_f64_e32 v[6:7], v[22:23], v[16:17]
	scratch_load_b128 v[22:25], off, off offset:396 th:TH_LOAD_LU ; 16-byte Folded Reload
	v_fma_f64 v[4:5], v[20:21], v[16:17], v[4:5]
	v_fma_f64 v[6:7], v[20:21], v[18:19], -v[6:7]
	ds_load_b128 v[18:21], v168 offset:1792
	s_wait_loadcnt_dscnt 0x0
	v_mul_f64_e32 v[16:17], v[24:25], v[20:21]
	s_delay_alu instid0(VALU_DEP_1) | instskip(SKIP_1) | instid1(VALU_DEP_1)
	v_fma_f64 v[16:17], v[22:23], v[18:19], v[16:17]
	v_mul_f64_e32 v[18:19], v[24:25], v[18:19]
	v_fma_f64 v[18:19], v[22:23], v[20:21], -v[18:19]
	ds_load_b128 v[22:25], v168 offset:12992
	s_wait_dscnt 0x0
	v_mul_f64_e32 v[20:21], v[28:29], v[24:25]
	s_delay_alu instid0(VALU_DEP_1) | instskip(SKIP_1) | instid1(VALU_DEP_1)
	v_fma_f64 v[20:21], v[26:27], v[22:23], v[20:21]
	v_mul_f64_e32 v[22:23], v[28:29], v[22:23]
	v_fma_f64 v[24:25], v[26:27], v[24:25], -v[22:23]
	ds_load_b128 v[26:29], v168 offset:2688
	s_wait_dscnt 0x0
	;; [unrolled: 7-line block ×19, first 2 shown]
	v_mul_f64_e32 v[96:97], v[100:101], v[30:31]
	s_delay_alu instid0(VALU_DEP_1)
	v_fma_f64 v[96:97], v[98:99], v[28:29], v[96:97]
	v_mul_f64_e32 v[28:29], v[100:101], v[28:29]
	scratch_load_b32 v100, off, off offset:52 th:TH_LOAD_LU ; 4-byte Folded Reload
	v_fma_f64 v[30:31], v[98:99], v[30:31], -v[28:29]
	scratch_load_b64 v[28:29], off, off offset:44 th:TH_LOAD_LU ; 8-byte Folded Reload
	s_wait_loadcnt 0x0
	v_mov_b32_e32 v98, v28
	s_delay_alu instid0(VALU_DEP_1) | instskip(NEXT) | instid1(VALU_DEP_1)
	v_mad_co_u64_u32 v[28:29], null, s6, v98, 0
	v_mad_co_u64_u32 v[98:99], null, s7, v98, v[29:30]
	v_mul_f64_e32 v[30:31], s[2:3], v[30:31]
	s_delay_alu instid0(VALU_DEP_2) | instskip(SKIP_1) | instid1(VALU_DEP_2)
	v_mov_b32_e32 v29, v98
	v_mad_co_u64_u32 v[98:99], null, s4, v100, 0
	v_lshlrev_b64_e32 v[28:29], 4, v[28:29]
	s_delay_alu instid0(VALU_DEP_2) | instskip(NEXT) | instid1(VALU_DEP_2)
	v_mad_co_u64_u32 v[99:100], null, s5, v100, v[99:100]
	v_add_co_u32 v100, s0, s8, v28
	s_wait_alu 0xf1ff
	s_delay_alu instid0(VALU_DEP_3) | instskip(NEXT) | instid1(VALU_DEP_3)
	v_add_co_ci_u32_e64 v101, s0, s9, v29, s0
	v_lshlrev_b64_e32 v[28:29], 4, v[98:99]
	s_delay_alu instid0(VALU_DEP_1) | instskip(SKIP_1) | instid1(VALU_DEP_2)
	v_add_co_u32 v28, s0, v100, v28
	s_wait_alu 0xf1ff
	v_add_co_ci_u32_e64 v29, s0, v101, v29, s0
	s_mul_u64 s[0:1], s[4:5], 0x2bc
	s_wait_alu 0xfffe
	s_lshl_b64 s[6:7], s[0:1], 4
	global_store_b128 v[28:29], v[0:3], off
	v_mul_f64_e32 v[0:1], s[2:3], v[8:9]
	v_mul_f64_e32 v[2:3], s[2:3], v[12:13]
	s_wait_alu 0xfffe
	v_add_co_u32 v8, s0, v28, s6
	s_wait_alu 0xf1ff
	v_add_co_ci_u32_e64 v9, s0, s7, v29, s0
	s_movk_i32 s0, 0xfd7c
	s_mov_b32 s1, -1
	v_mul_f64_e32 v[12:13], s[2:3], v[60:61]
	s_wait_alu 0xfffe
	s_mul_u64 s[0:1], s[4:5], s[0:1]
	s_wait_alu 0xfffe
	s_lshl_b64 s[8:9], s[0:1], 4
	global_store_b128 v[8:9], v[0:3], off
	v_mul_f64_e32 v[0:1], s[2:3], v[10:11]
	v_mul_f64_e32 v[2:3], s[2:3], v[14:15]
	s_wait_alu 0xfffe
	v_add_co_u32 v8, s0, v8, s8
	s_wait_alu 0xf1ff
	v_add_co_ci_u32_e64 v9, s0, s9, v9, s0
	v_mul_f64_e32 v[10:11], s[2:3], v[58:59]
	v_mul_f64_e32 v[14:15], s[2:3], v[62:63]
	global_store_b128 v[8:9], v[0:3], off
	v_mul_f64_e32 v[0:1], s[2:3], v[4:5]
	v_mul_f64_e32 v[2:3], s[2:3], v[6:7]
	v_add_co_u32 v4, s0, v8, s6
	s_wait_alu 0xf1ff
	v_add_co_ci_u32_e64 v5, s0, s7, v9, s0
	v_mul_f64_e32 v[6:7], s[2:3], v[54:55]
	global_store_b128 v[4:5], v[0:3], off
	v_mul_f64_e32 v[0:1], s[2:3], v[16:17]
	v_mul_f64_e32 v[2:3], s[2:3], v[18:19]
	v_add_co_u32 v4, s0, v4, s8
	s_wait_alu 0xf1ff
	v_add_co_ci_u32_e64 v5, s0, s9, v5, s0
	v_mul_f64_e32 v[16:17], s[2:3], v[64:65]
	v_mul_f64_e32 v[18:19], s[2:3], v[66:67]
	global_store_b128 v[4:5], v[0:3], off
	v_mul_f64_e32 v[0:1], s[2:3], v[20:21]
	v_mul_f64_e32 v[2:3], s[2:3], v[24:25]
	v_add_co_u32 v4, s0, v4, s6
	s_wait_alu 0xf1ff
	v_add_co_ci_u32_e64 v5, s0, s7, v5, s0
	global_store_b128 v[4:5], v[0:3], off
	v_mul_f64_e32 v[0:1], s[2:3], v[22:23]
	v_mul_f64_e32 v[2:3], s[2:3], v[26:27]
	v_add_co_u32 v4, s0, v4, s8
	s_wait_alu 0xf1ff
	v_add_co_ci_u32_e64 v5, s0, s9, v5, s0
	global_store_b128 v[4:5], v[0:3], off
	v_mul_f64_e32 v[0:1], s[2:3], v[32:33]
	v_mul_f64_e32 v[2:3], s[2:3], v[34:35]
	v_add_co_u32 v4, s0, v4, s6
	s_wait_alu 0xf1ff
	v_add_co_ci_u32_e64 v5, s0, s7, v5, s0
	global_store_b128 v[4:5], v[0:3], off
	v_mul_f64_e32 v[0:1], s[2:3], v[36:37]
	v_mul_f64_e32 v[2:3], s[2:3], v[38:39]
	v_add_co_u32 v4, s0, v4, s8
	s_wait_alu 0xf1ff
	v_add_co_ci_u32_e64 v5, s0, s9, v5, s0
	global_store_b128 v[4:5], v[0:3], off
	v_mul_f64_e32 v[0:1], s[2:3], v[40:41]
	v_mul_f64_e32 v[2:3], s[2:3], v[42:43]
	v_add_co_u32 v4, s0, v4, s6
	s_wait_alu 0xf1ff
	v_add_co_ci_u32_e64 v5, s0, s7, v5, s0
	s_delay_alu instid0(VALU_DEP_2) | instskip(SKIP_1) | instid1(VALU_DEP_2)
	v_add_co_u32 v8, s0, v4, s8
	s_wait_alu 0xf1ff
	v_add_co_ci_u32_e64 v9, s0, s9, v5, s0
	s_delay_alu instid0(VALU_DEP_2) | instskip(SKIP_1) | instid1(VALU_DEP_2)
	v_add_co_u32 v20, s0, v8, s6
	s_wait_alu 0xf1ff
	v_add_co_ci_u32_e64 v21, s0, s7, v9, s0
	;; [unrolled: 4-line block ×3, first 2 shown]
	global_store_b128 v[4:5], v[0:3], off
	v_mul_f64_e32 v[0:1], s[2:3], v[44:45]
	v_mul_f64_e32 v[2:3], s[2:3], v[46:47]
	v_mul_f64_e32 v[4:5], s[2:3], v[52:53]
	global_store_b128 v[8:9], v[0:3], off
	v_mul_f64_e32 v[0:1], s[2:3], v[48:49]
	v_mul_f64_e32 v[2:3], s[2:3], v[50:51]
	;; [unrolled: 1-line block ×3, first 2 shown]
	global_store_b128 v[20:21], v[0:3], off
	global_store_b128 v[22:23], v[4:7], off
	scratch_load_b32 v5, off, off offset:56 th:TH_LOAD_LU ; 4-byte Folded Reload
	v_add_co_u32 v20, s0, v22, s6
	s_wait_alu 0xf1ff
	v_add_co_ci_u32_e64 v21, s0, s7, v23, s0
	v_mul_f64_e32 v[0:1], s[2:3], v[68:69]
	s_delay_alu instid0(VALU_DEP_3) | instskip(SKIP_1) | instid1(VALU_DEP_3)
	v_add_co_u32 v24, s0, v20, s8
	s_wait_alu 0xf1ff
	v_add_co_ci_u32_e64 v25, s0, s9, v21, s0
	v_mul_f64_e32 v[2:3], s[2:3], v[70:71]
	s_delay_alu instid0(VALU_DEP_3) | instskip(SKIP_1) | instid1(VALU_DEP_3)
	v_add_co_u32 v26, s0, v24, s6
	s_wait_alu 0xf1ff
	v_add_co_ci_u32_e64 v27, s0, s7, v25, s0
	v_mul_f64_e32 v[6:7], s[2:3], v[74:75]
	global_store_b128 v[20:21], v[8:11], off
	global_store_b128 v[24:25], v[12:15], off
	;; [unrolled: 1-line block ×3, first 2 shown]
	v_mul_f64_e32 v[8:9], s[2:3], v[76:77]
	v_mad_co_u64_u32 v[34:35], null, 0x380, s4, v[26:27]
	v_mul_f64_e32 v[10:11], s[2:3], v[78:79]
	v_mul_f64_e32 v[12:13], s[2:3], v[80:81]
	;; [unrolled: 1-line block ×8, first 2 shown]
	s_wait_loadcnt 0x0
	v_mad_co_u64_u32 v[32:33], null, s4, v5, 0
	s_delay_alu instid0(VALU_DEP_1) | instskip(NEXT) | instid1(VALU_DEP_1)
	v_mov_b32_e32 v4, v33
	v_mad_co_u64_u32 v[22:23], null, s5, v5, v[4:5]
	v_mov_b32_e32 v4, v35
                                        ; kill: def $vgpr5 killed $sgpr0 killed $exec
	v_add_co_u32 v36, s0, v34, s8
	s_delay_alu instid0(VALU_DEP_2) | instskip(SKIP_3) | instid1(VALU_DEP_4)
	v_mad_co_u64_u32 v[28:29], null, 0x380, s5, v[4:5]
	v_mul_f64_e32 v[4:5], s[2:3], v[72:73]
	v_mov_b32_e32 v33, v22
	v_mul_f64_e32 v[22:23], s[2:3], v[90:91]
	v_mov_b32_e32 v35, v28
	s_delay_alu instid0(VALU_DEP_3) | instskip(SKIP_2) | instid1(VALU_DEP_3)
	v_lshlrev_b64_e32 v[32:33], 4, v[32:33]
	v_mul_f64_e32 v[28:29], s[2:3], v[96:97]
	s_wait_alu 0xf1ff
	v_add_co_ci_u32_e64 v37, s0, s9, v35, s0
	s_delay_alu instid0(VALU_DEP_3)
	v_add_co_u32 v32, s0, v100, v32
	s_wait_alu 0xf1ff
	v_add_co_ci_u32_e64 v33, s0, v101, v33, s0
	v_add_co_u32 v38, s0, v36, s6
	s_wait_alu 0xf1ff
	v_add_co_ci_u32_e64 v39, s0, s7, v37, s0
	global_store_b128 v[32:33], v[0:3], off
	v_add_co_u32 v2, s0, v38, s8
	s_wait_alu 0xf1ff
	v_add_co_ci_u32_e64 v3, s0, s9, v39, s0
	s_delay_alu instid0(VALU_DEP_2) | instskip(SKIP_1) | instid1(VALU_DEP_2)
	v_add_co_u32 v32, s0, v2, s6
	s_wait_alu 0xf1ff
	v_add_co_ci_u32_e64 v33, s0, s7, v3, s0
	global_store_b128 v[34:35], v[4:7], off
	v_add_co_u32 v4, s0, v32, s8
	s_wait_alu 0xf1ff
	v_add_co_ci_u32_e64 v5, s0, s9, v33, s0
	global_store_b128 v[36:37], v[8:11], off
	;; [unrolled: 4-line block ×3, first 2 shown]
	global_store_b128 v[2:3], v[16:19], off
	global_store_b128 v[32:33], v[20:23], off
	global_store_b128 v[4:5], v[24:27], off
	global_store_b128 v[0:1], v[28:31], off
	s_and_b32 exec_lo, exec_lo, vcc_lo
	s_cbranch_execz .LBB0_39
; %bb.38:
	scratch_load_b64 v[16:17], off, off th:TH_LOAD_LU ; 8-byte Folded Reload
	s_wait_loadcnt 0x0
	global_load_b128 v[2:5], v[16:17], off offset:10752
	ds_load_b128 v[6:9], v168 offset:10752
	ds_load_b128 v[10:13], v168 offset:21952
	s_wait_loadcnt_dscnt 0x1
	v_mul_f64_e32 v[14:15], v[8:9], v[4:5]
	v_mul_f64_e32 v[4:5], v[6:7], v[4:5]
	s_delay_alu instid0(VALU_DEP_2) | instskip(NEXT) | instid1(VALU_DEP_2)
	v_fma_f64 v[6:7], v[6:7], v[2:3], v[14:15]
	v_fma_f64 v[4:5], v[2:3], v[8:9], -v[4:5]
	s_delay_alu instid0(VALU_DEP_2) | instskip(NEXT) | instid1(VALU_DEP_2)
	v_mul_f64_e32 v[2:3], s[2:3], v[6:7]
	v_mul_f64_e32 v[4:5], s[2:3], v[4:5]
	v_add_co_u32 v6, vcc_lo, v0, s8
	s_wait_alu 0xfffd
	v_add_co_ci_u32_e32 v7, vcc_lo, s9, v1, vcc_lo
	global_store_b128 v[6:7], v[2:5], off
	global_load_b128 v[0:3], v[16:17], off offset:21952
	s_wait_loadcnt_dscnt 0x0
	v_mul_f64_e32 v[4:5], v[12:13], v[2:3]
	v_mul_f64_e32 v[2:3], v[10:11], v[2:3]
	s_delay_alu instid0(VALU_DEP_2) | instskip(NEXT) | instid1(VALU_DEP_2)
	v_fma_f64 v[4:5], v[10:11], v[0:1], v[4:5]
	v_fma_f64 v[2:3], v[0:1], v[12:13], -v[2:3]
	s_delay_alu instid0(VALU_DEP_2) | instskip(NEXT) | instid1(VALU_DEP_2)
	v_mul_f64_e32 v[0:1], s[2:3], v[4:5]
	v_mul_f64_e32 v[2:3], s[2:3], v[2:3]
	v_add_co_u32 v4, vcc_lo, v6, s6
	s_wait_alu 0xfffd
	v_add_co_ci_u32_e32 v5, vcc_lo, s7, v7, vcc_lo
	global_store_b128 v[4:5], v[0:3], off
.LBB0_39:
	s_nop 0
	s_sendmsg sendmsg(MSG_DEALLOC_VGPRS)
	s_endpgm
	.section	.rodata,"a",@progbits
	.p2align	6, 0x0
	.amdhsa_kernel bluestein_single_back_len1400_dim1_dp_op_CI_CI
		.amdhsa_group_segment_fixed_size 22400
		.amdhsa_private_segment_fixed_size 940
		.amdhsa_kernarg_size 104
		.amdhsa_user_sgpr_count 2
		.amdhsa_user_sgpr_dispatch_ptr 0
		.amdhsa_user_sgpr_queue_ptr 0
		.amdhsa_user_sgpr_kernarg_segment_ptr 1
		.amdhsa_user_sgpr_dispatch_id 0
		.amdhsa_user_sgpr_private_segment_size 0
		.amdhsa_wavefront_size32 1
		.amdhsa_uses_dynamic_stack 0
		.amdhsa_enable_private_segment 1
		.amdhsa_system_sgpr_workgroup_id_x 1
		.amdhsa_system_sgpr_workgroup_id_y 0
		.amdhsa_system_sgpr_workgroup_id_z 0
		.amdhsa_system_sgpr_workgroup_info 0
		.amdhsa_system_vgpr_workitem_id 0
		.amdhsa_next_free_vgpr 256
		.amdhsa_next_free_sgpr 32
		.amdhsa_reserve_vcc 1
		.amdhsa_float_round_mode_32 0
		.amdhsa_float_round_mode_16_64 0
		.amdhsa_float_denorm_mode_32 3
		.amdhsa_float_denorm_mode_16_64 3
		.amdhsa_fp16_overflow 0
		.amdhsa_workgroup_processor_mode 1
		.amdhsa_memory_ordered 1
		.amdhsa_forward_progress 0
		.amdhsa_round_robin_scheduling 0
		.amdhsa_exception_fp_ieee_invalid_op 0
		.amdhsa_exception_fp_denorm_src 0
		.amdhsa_exception_fp_ieee_div_zero 0
		.amdhsa_exception_fp_ieee_overflow 0
		.amdhsa_exception_fp_ieee_underflow 0
		.amdhsa_exception_fp_ieee_inexact 0
		.amdhsa_exception_int_div_zero 0
	.end_amdhsa_kernel
	.text
.Lfunc_end0:
	.size	bluestein_single_back_len1400_dim1_dp_op_CI_CI, .Lfunc_end0-bluestein_single_back_len1400_dim1_dp_op_CI_CI
                                        ; -- End function
	.section	.AMDGPU.csdata,"",@progbits
; Kernel info:
; codeLenInByte = 38596
; NumSgprs: 34
; NumVgprs: 256
; ScratchSize: 940
; MemoryBound: 0
; FloatMode: 240
; IeeeMode: 1
; LDSByteSize: 22400 bytes/workgroup (compile time only)
; SGPRBlocks: 4
; VGPRBlocks: 31
; NumSGPRsForWavesPerEU: 34
; NumVGPRsForWavesPerEU: 256
; Occupancy: 3
; WaveLimiterHint : 1
; COMPUTE_PGM_RSRC2:SCRATCH_EN: 1
; COMPUTE_PGM_RSRC2:USER_SGPR: 2
; COMPUTE_PGM_RSRC2:TRAP_HANDLER: 0
; COMPUTE_PGM_RSRC2:TGID_X_EN: 1
; COMPUTE_PGM_RSRC2:TGID_Y_EN: 0
; COMPUTE_PGM_RSRC2:TGID_Z_EN: 0
; COMPUTE_PGM_RSRC2:TIDIG_COMP_CNT: 0
	.text
	.p2alignl 7, 3214868480
	.fill 96, 4, 3214868480
	.type	__hip_cuid_fa7201b3eaac5a38,@object ; @__hip_cuid_fa7201b3eaac5a38
	.section	.bss,"aw",@nobits
	.globl	__hip_cuid_fa7201b3eaac5a38
__hip_cuid_fa7201b3eaac5a38:
	.byte	0                               ; 0x0
	.size	__hip_cuid_fa7201b3eaac5a38, 1

	.ident	"AMD clang version 19.0.0git (https://github.com/RadeonOpenCompute/llvm-project roc-6.4.0 25133 c7fe45cf4b819c5991fe208aaa96edf142730f1d)"
	.section	".note.GNU-stack","",@progbits
	.addrsig
	.addrsig_sym __hip_cuid_fa7201b3eaac5a38
	.amdgpu_metadata
---
amdhsa.kernels:
  - .args:
      - .actual_access:  read_only
        .address_space:  global
        .offset:         0
        .size:           8
        .value_kind:     global_buffer
      - .actual_access:  read_only
        .address_space:  global
        .offset:         8
        .size:           8
        .value_kind:     global_buffer
      - .actual_access:  read_only
        .address_space:  global
        .offset:         16
        .size:           8
        .value_kind:     global_buffer
      - .actual_access:  read_only
        .address_space:  global
        .offset:         24
        .size:           8
        .value_kind:     global_buffer
      - .actual_access:  read_only
        .address_space:  global
        .offset:         32
        .size:           8
        .value_kind:     global_buffer
      - .offset:         40
        .size:           8
        .value_kind:     by_value
      - .address_space:  global
        .offset:         48
        .size:           8
        .value_kind:     global_buffer
      - .address_space:  global
        .offset:         56
        .size:           8
        .value_kind:     global_buffer
      - .address_space:  global
        .offset:         64
        .size:           8
        .value_kind:     global_buffer
      - .address_space:  global
        .offset:         72
        .size:           8
        .value_kind:     global_buffer
      - .offset:         80
        .size:           4
        .value_kind:     by_value
      - .address_space:  global
        .offset:         88
        .size:           8
        .value_kind:     global_buffer
      - .address_space:  global
        .offset:         96
        .size:           8
        .value_kind:     global_buffer
    .group_segment_fixed_size: 22400
    .kernarg_segment_align: 8
    .kernarg_segment_size: 104
    .language:       OpenCL C
    .language_version:
      - 2
      - 0
    .max_flat_workgroup_size: 56
    .name:           bluestein_single_back_len1400_dim1_dp_op_CI_CI
    .private_segment_fixed_size: 940
    .sgpr_count:     34
    .sgpr_spill_count: 0
    .symbol:         bluestein_single_back_len1400_dim1_dp_op_CI_CI.kd
    .uniform_work_group_size: 1
    .uses_dynamic_stack: false
    .vgpr_count:     256
    .vgpr_spill_count: 242
    .wavefront_size: 32
    .workgroup_processor_mode: 1
amdhsa.target:   amdgcn-amd-amdhsa--gfx1201
amdhsa.version:
  - 1
  - 2
...

	.end_amdgpu_metadata
